;; amdgpu-corpus repo=ROCm/composable_kernel kind=compiled arch=gfx950 opt=O3
	.amdgcn_target "amdgcn-amd-amdhsa--gfx950"
	.amdhsa_code_object_version 6
	.section	.text._ZN2ckL12flush_icacheEv,"axG",@progbits,_ZN2ckL12flush_icacheEv,comdat
	.globl	_ZN2ckL12flush_icacheEv         ; -- Begin function _ZN2ckL12flush_icacheEv
	.p2align	8
	.type	_ZN2ckL12flush_icacheEv,@function
_ZN2ckL12flush_icacheEv:                ; @_ZN2ckL12flush_icacheEv
; %bb.0:
	;;#ASMSTART
	s_icache_inv 
	s_nop 0 
	s_nop 0 
	;; [unrolled: 1-line block ×16, first 2 shown]
	
	;;#ASMEND
	s_endpgm
	.section	.rodata,"a",@progbits
	.p2align	6, 0x0
	.amdhsa_kernel _ZN2ckL12flush_icacheEv
		.amdhsa_group_segment_fixed_size 0
		.amdhsa_private_segment_fixed_size 0
		.amdhsa_kernarg_size 0
		.amdhsa_user_sgpr_count 0
		.amdhsa_user_sgpr_dispatch_ptr 0
		.amdhsa_user_sgpr_queue_ptr 0
		.amdhsa_user_sgpr_kernarg_segment_ptr 0
		.amdhsa_user_sgpr_dispatch_id 0
		.amdhsa_user_sgpr_kernarg_preload_length 0
		.amdhsa_user_sgpr_kernarg_preload_offset 0
		.amdhsa_user_sgpr_private_segment_size 0
		.amdhsa_uses_dynamic_stack 0
		.amdhsa_enable_private_segment 0
		.amdhsa_system_sgpr_workgroup_id_x 1
		.amdhsa_system_sgpr_workgroup_id_y 0
		.amdhsa_system_sgpr_workgroup_id_z 0
		.amdhsa_system_sgpr_workgroup_info 0
		.amdhsa_system_vgpr_workitem_id 0
		.amdhsa_next_free_vgpr 1
		.amdhsa_next_free_sgpr 0
		.amdhsa_accum_offset 4
		.amdhsa_reserve_vcc 0
		.amdhsa_float_round_mode_32 0
		.amdhsa_float_round_mode_16_64 0
		.amdhsa_float_denorm_mode_32 3
		.amdhsa_float_denorm_mode_16_64 3
		.amdhsa_dx10_clamp 1
		.amdhsa_ieee_mode 1
		.amdhsa_fp16_overflow 0
		.amdhsa_tg_split 0
		.amdhsa_exception_fp_ieee_invalid_op 0
		.amdhsa_exception_fp_denorm_src 0
		.amdhsa_exception_fp_ieee_div_zero 0
		.amdhsa_exception_fp_ieee_overflow 0
		.amdhsa_exception_fp_ieee_underflow 0
		.amdhsa_exception_fp_ieee_inexact 0
		.amdhsa_exception_int_div_zero 0
	.end_amdhsa_kernel
	.section	.text._ZN2ckL12flush_icacheEv,"axG",@progbits,_ZN2ckL12flush_icacheEv,comdat
.Lfunc_end0:
	.size	_ZN2ckL12flush_icacheEv, .Lfunc_end0-_ZN2ckL12flush_icacheEv
                                        ; -- End function
	.set _ZN2ckL12flush_icacheEv.num_vgpr, 0
	.set _ZN2ckL12flush_icacheEv.num_agpr, 0
	.set _ZN2ckL12flush_icacheEv.numbered_sgpr, 0
	.set _ZN2ckL12flush_icacheEv.num_named_barrier, 0
	.set _ZN2ckL12flush_icacheEv.private_seg_size, 0
	.set _ZN2ckL12flush_icacheEv.uses_vcc, 0
	.set _ZN2ckL12flush_icacheEv.uses_flat_scratch, 0
	.set _ZN2ckL12flush_icacheEv.has_dyn_sized_stack, 0
	.set _ZN2ckL12flush_icacheEv.has_recursion, 0
	.set _ZN2ckL12flush_icacheEv.has_indirect_call, 0
	.section	.AMDGPU.csdata,"",@progbits
; Kernel info:
; codeLenInByte = 276
; TotalNumSgprs: 6
; NumVgprs: 0
; NumAgprs: 0
; TotalNumVgprs: 0
; ScratchSize: 0
; MemoryBound: 0
; FloatMode: 240
; IeeeMode: 1
; LDSByteSize: 0 bytes/workgroup (compile time only)
; SGPRBlocks: 0
; VGPRBlocks: 0
; NumSGPRsForWavesPerEU: 6
; NumVGPRsForWavesPerEU: 1
; AccumOffset: 4
; Occupancy: 8
; WaveLimiterHint : 0
; COMPUTE_PGM_RSRC2:SCRATCH_EN: 0
; COMPUTE_PGM_RSRC2:USER_SGPR: 0
; COMPUTE_PGM_RSRC2:TRAP_HANDLER: 0
; COMPUTE_PGM_RSRC2:TGID_X_EN: 1
; COMPUTE_PGM_RSRC2:TGID_Y_EN: 0
; COMPUTE_PGM_RSRC2:TGID_Z_EN: 0
; COMPUTE_PGM_RSRC2:TIDIG_COMP_CNT: 0
; COMPUTE_PGM_RSRC3_GFX90A:ACCUM_OFFSET: 0
; COMPUTE_PGM_RSRC3_GFX90A:TG_SPLIT: 0
	.section	.text._ZN2ck27kernel_gemm_xdl_cshuffle_v3INS_28GridwiseGemm_xdl_cshuffle_v3INS_13tensor_layout4gemm8RowMajorENS3_11ColumnMajorES4_dddddNS_16tensor_operation12element_wise11PassThroughES8_S8_LNS6_6device18GemmSpecializationE0ELi128ELi64ELi64ELi64ELi4ELi4ELi16ELi16ELi2ELi4ENS_8SequenceIJLi4ELi32ELi1EEEENSB_IJLi1ELi0ELi2EEEESD_Li2ELi2ELi2ELb0ELi0ESC_SD_SD_Li2ELi2ELi2ELb0ELi0ELi1ELi2ENSB_IJLi1ELi32ELi1ELi4EEEELi2ELNS_26BlockGemmPipelineSchedulerE0ELNS_24BlockGemmPipelineVersionE2EddLb0ELb0ELb0ELi0ELb0EEELb1ELNS_25InMemoryDataOperationEnumE1ELi2ELNS_10TailNumberE10EEEvNT_8ArgumentE,"axG",@progbits,_ZN2ck27kernel_gemm_xdl_cshuffle_v3INS_28GridwiseGemm_xdl_cshuffle_v3INS_13tensor_layout4gemm8RowMajorENS3_11ColumnMajorES4_dddddNS_16tensor_operation12element_wise11PassThroughES8_S8_LNS6_6device18GemmSpecializationE0ELi128ELi64ELi64ELi64ELi4ELi4ELi16ELi16ELi2ELi4ENS_8SequenceIJLi4ELi32ELi1EEEENSB_IJLi1ELi0ELi2EEEESD_Li2ELi2ELi2ELb0ELi0ESC_SD_SD_Li2ELi2ELi2ELb0ELi0ELi1ELi2ENSB_IJLi1ELi32ELi1ELi4EEEELi2ELNS_26BlockGemmPipelineSchedulerE0ELNS_24BlockGemmPipelineVersionE2EddLb0ELb0ELb0ELi0ELb0EEELb1ELNS_25InMemoryDataOperationEnumE1ELi2ELNS_10TailNumberE10EEEvNT_8ArgumentE,comdat
	.protected	_ZN2ck27kernel_gemm_xdl_cshuffle_v3INS_28GridwiseGemm_xdl_cshuffle_v3INS_13tensor_layout4gemm8RowMajorENS3_11ColumnMajorES4_dddddNS_16tensor_operation12element_wise11PassThroughES8_S8_LNS6_6device18GemmSpecializationE0ELi128ELi64ELi64ELi64ELi4ELi4ELi16ELi16ELi2ELi4ENS_8SequenceIJLi4ELi32ELi1EEEENSB_IJLi1ELi0ELi2EEEESD_Li2ELi2ELi2ELb0ELi0ESC_SD_SD_Li2ELi2ELi2ELb0ELi0ELi1ELi2ENSB_IJLi1ELi32ELi1ELi4EEEELi2ELNS_26BlockGemmPipelineSchedulerE0ELNS_24BlockGemmPipelineVersionE2EddLb0ELb0ELb0ELi0ELb0EEELb1ELNS_25InMemoryDataOperationEnumE1ELi2ELNS_10TailNumberE10EEEvNT_8ArgumentE ; -- Begin function _ZN2ck27kernel_gemm_xdl_cshuffle_v3INS_28GridwiseGemm_xdl_cshuffle_v3INS_13tensor_layout4gemm8RowMajorENS3_11ColumnMajorES4_dddddNS_16tensor_operation12element_wise11PassThroughES8_S8_LNS6_6device18GemmSpecializationE0ELi128ELi64ELi64ELi64ELi4ELi4ELi16ELi16ELi2ELi4ENS_8SequenceIJLi4ELi32ELi1EEEENSB_IJLi1ELi0ELi2EEEESD_Li2ELi2ELi2ELb0ELi0ESC_SD_SD_Li2ELi2ELi2ELb0ELi0ELi1ELi2ENSB_IJLi1ELi32ELi1ELi4EEEELi2ELNS_26BlockGemmPipelineSchedulerE0ELNS_24BlockGemmPipelineVersionE2EddLb0ELb0ELb0ELi0ELb0EEELb1ELNS_25InMemoryDataOperationEnumE1ELi2ELNS_10TailNumberE10EEEvNT_8ArgumentE
	.globl	_ZN2ck27kernel_gemm_xdl_cshuffle_v3INS_28GridwiseGemm_xdl_cshuffle_v3INS_13tensor_layout4gemm8RowMajorENS3_11ColumnMajorES4_dddddNS_16tensor_operation12element_wise11PassThroughES8_S8_LNS6_6device18GemmSpecializationE0ELi128ELi64ELi64ELi64ELi4ELi4ELi16ELi16ELi2ELi4ENS_8SequenceIJLi4ELi32ELi1EEEENSB_IJLi1ELi0ELi2EEEESD_Li2ELi2ELi2ELb0ELi0ESC_SD_SD_Li2ELi2ELi2ELb0ELi0ELi1ELi2ENSB_IJLi1ELi32ELi1ELi4EEEELi2ELNS_26BlockGemmPipelineSchedulerE0ELNS_24BlockGemmPipelineVersionE2EddLb0ELb0ELb0ELi0ELb0EEELb1ELNS_25InMemoryDataOperationEnumE1ELi2ELNS_10TailNumberE10EEEvNT_8ArgumentE
	.p2align	8
	.type	_ZN2ck27kernel_gemm_xdl_cshuffle_v3INS_28GridwiseGemm_xdl_cshuffle_v3INS_13tensor_layout4gemm8RowMajorENS3_11ColumnMajorES4_dddddNS_16tensor_operation12element_wise11PassThroughES8_S8_LNS6_6device18GemmSpecializationE0ELi128ELi64ELi64ELi64ELi4ELi4ELi16ELi16ELi2ELi4ENS_8SequenceIJLi4ELi32ELi1EEEENSB_IJLi1ELi0ELi2EEEESD_Li2ELi2ELi2ELb0ELi0ESC_SD_SD_Li2ELi2ELi2ELb0ELi0ELi1ELi2ENSB_IJLi1ELi32ELi1ELi4EEEELi2ELNS_26BlockGemmPipelineSchedulerE0ELNS_24BlockGemmPipelineVersionE2EddLb0ELb0ELb0ELi0ELb0EEELb1ELNS_25InMemoryDataOperationEnumE1ELi2ELNS_10TailNumberE10EEEvNT_8ArgumentE,@function
_ZN2ck27kernel_gemm_xdl_cshuffle_v3INS_28GridwiseGemm_xdl_cshuffle_v3INS_13tensor_layout4gemm8RowMajorENS3_11ColumnMajorES4_dddddNS_16tensor_operation12element_wise11PassThroughES8_S8_LNS6_6device18GemmSpecializationE0ELi128ELi64ELi64ELi64ELi4ELi4ELi16ELi16ELi2ELi4ENS_8SequenceIJLi4ELi32ELi1EEEENSB_IJLi1ELi0ELi2EEEESD_Li2ELi2ELi2ELb0ELi0ESC_SD_SD_Li2ELi2ELi2ELb0ELi0ELi1ELi2ENSB_IJLi1ELi32ELi1ELi4EEEELi2ELNS_26BlockGemmPipelineSchedulerE0ELNS_24BlockGemmPipelineVersionE2EddLb0ELb0ELb0ELi0ELb0EEELb1ELNS_25InMemoryDataOperationEnumE1ELi2ELNS_10TailNumberE10EEEvNT_8ArgumentE: ; @_ZN2ck27kernel_gemm_xdl_cshuffle_v3INS_28GridwiseGemm_xdl_cshuffle_v3INS_13tensor_layout4gemm8RowMajorENS3_11ColumnMajorES4_dddddNS_16tensor_operation12element_wise11PassThroughES8_S8_LNS6_6device18GemmSpecializationE0ELi128ELi64ELi64ELi64ELi4ELi4ELi16ELi16ELi2ELi4ENS_8SequenceIJLi4ELi32ELi1EEEENSB_IJLi1ELi0ELi2EEEESD_Li2ELi2ELi2ELb0ELi0ESC_SD_SD_Li2ELi2ELi2ELb0ELi0ELi1ELi2ENSB_IJLi1ELi32ELi1ELi4EEEELi2ELNS_26BlockGemmPipelineSchedulerE0ELNS_24BlockGemmPipelineVersionE2EddLb0ELb0ELb0ELi0ELb0EEELb1ELNS_25InMemoryDataOperationEnumE1ELi2ELNS_10TailNumberE10EEEvNT_8ArgumentE
; %bb.0:
	s_load_dwordx8 s[16:23], s[0:1], 0x10
	s_load_dwordx2 s[8:9], s[0:1], 0x60
	s_load_dword s12, s[0:1], 0x68
	s_load_dword s14, s[0:1], 0x3c
	s_load_dwordx4 s[4:7], s[0:1], 0x50
	s_waitcnt lgkmcnt(0)
	s_cmp_gt_i32 s22, 1
	s_cselect_b64 s[10:11], -1, 0
	s_bitcmp1_b32 s12, 0
	s_cselect_b64 s[12:13], -1, 0
	s_and_b64 s[10:11], s[10:11], s[12:13]
	s_andn2_b64 vcc, exec, s[10:11]
	s_mov_b64 s[10:11], 0
	s_cbranch_vccnz .LBB1_2
; %bb.1:
	s_mul_i32 s10, s16, s3
	s_mul_i32 s10, s10, s17
	s_ashr_i32 s11, s10, 31
.LBB1_2:
	s_load_dword s13, s[0:1], 0x34
	s_add_i32 s0, s16, -1
	s_cmp_lt_u32 s0, 64
	s_mov_b32 s12, 0
	s_cbranch_scc1 .LBB1_10
; %bb.3:
	s_add_i32 s0, s17, -1
	s_cmp_lt_u32 s0, 64
	s_mov_b32 s0, 0
	s_cbranch_scc1 .LBB1_9
; %bb.4:
	s_add_i32 s0, s16, 63
	s_ashr_i32 s1, s0, 31
	s_lshr_b32 s1, s1, 26
	s_add_i32 s0, s0, s1
	s_ashr_i32 s15, s0, 6
	s_add_i32 s0, s17, 63
	s_ashr_i32 s1, s0, 31
	s_lshr_b32 s1, s1, 26
	s_add_i32 s0, s0, s1
	s_ashr_i32 s12, s0, 6
	s_mul_i32 s0, s12, s15
	s_add_i32 s1, s0, 7
	s_ashr_i32 s23, s1, 31
	s_lshr_b32 s23, s23, 29
	s_add_i32 s1, s1, s23
	s_ashr_i32 s23, s1, 3
	s_and_b32 s1, s1, -8
	s_sub_i32 s24, s0, s1
	s_ashr_i32 s0, s2, 31
	s_lshr_b32 s0, s0, 29
	s_add_i32 s26, s2, s0
	s_and_b32 s0, s26, -8
	s_add_i32 s24, s24, 8
	s_sub_i32 s25, s2, s0
	s_cmp_gt_i32 s25, s24
	s_cbranch_scc1 .LBB1_6
; %bb.5:
	s_mul_i32 s2, s23, s25
	s_ashr_i32 s0, s26, 3
	s_cbranch_execz .LBB1_7
	s_branch .LBB1_8
.LBB1_6:
                                        ; implicit-def: $sgpr2
	s_ashr_i32 s0, s26, 3
.LBB1_7:
	s_add_i32 s1, s23, -1
	s_mul_i32 s1, s1, s25
	s_add_i32 s2, s24, s1
.LBB1_8:
	s_abs_i32 s1, s12
	v_cvt_f32_u32_e32 v1, s1
	s_sub_i32 s24, 0, s1
	s_add_i32 s0, s2, s0
	s_abs_i32 s23, s0
	v_rcp_iflag_f32_e32 v1, v1
	s_xor_b32 s2, s0, s12
	s_ashr_i32 s2, s2, 31
	v_mul_f32_e32 v1, 0x4f7ffffe, v1
	v_cvt_u32_f32_e32 v1, v1
	s_nop 0
	v_readfirstlane_b32 s25, v1
	s_mul_i32 s24, s24, s25
	s_mul_hi_u32 s24, s25, s24
	s_add_i32 s25, s25, s24
	s_mul_hi_u32 s24, s23, s25
	s_mul_i32 s25, s24, s1
	s_sub_i32 s23, s23, s25
	s_add_i32 s26, s24, 1
	s_sub_i32 s25, s23, s1
	s_cmp_ge_u32 s23, s1
	s_cselect_b32 s24, s26, s24
	s_cselect_b32 s23, s25, s23
	s_add_i32 s25, s24, 1
	s_cmp_ge_u32 s23, s1
	s_cselect_b32 s1, s25, s24
	s_xor_b32 s1, s1, s2
	s_lshr_b32 s23, s15, 30
	s_sub_i32 s1, s1, s2
	s_add_i32 s23, s15, s23
	s_mul_i32 s2, s1, s12
	s_sub_i32 s0, s0, s2
	s_and_b32 s2, s23, -4
	s_sub_i32 s15, s15, s2
	s_cmp_ge_i32 s1, s2
	s_cselect_b32 s2, s15, 4
	s_abs_i32 s23, s2
	v_cvt_f32_u32_e32 v1, s23
	s_ashr_i32 s15, s1, 31
	s_lshr_b32 s15, s15, 30
	s_add_i32 s15, s1, s15
	v_rcp_iflag_f32_e32 v1, v1
	s_and_b32 s15, s15, -4
	s_sub_i32 s15, s1, s15
	s_sub_i32 s25, 0, s23
	v_mul_f32_e32 v1, 0x4f7ffffe, v1
	v_cvt_u32_f32_e32 v1, v1
	s_mul_i32 s12, s15, s12
	s_add_i32 s12, s12, s0
	s_abs_i32 s24, s12
	v_readfirstlane_b32 s26, v1
	s_mul_i32 s25, s25, s26
	s_mul_hi_u32 s25, s26, s25
	s_add_i32 s26, s26, s25
	s_mul_hi_u32 s25, s24, s26
	s_mul_i32 s26, s25, s23
	s_xor_b32 s0, s12, s2
	s_sub_i32 s24, s24, s26
	s_ashr_i32 s0, s0, 31
	s_add_i32 s26, s25, 1
	s_sub_i32 s27, s24, s23
	s_cmp_ge_u32 s24, s23
	s_cselect_b32 s25, s26, s25
	s_cselect_b32 s24, s27, s24
	s_add_i32 s26, s25, 1
	s_cmp_ge_u32 s24, s23
	s_cselect_b32 s23, s26, s25
	s_xor_b32 s23, s23, s0
	s_sub_i32 s0, s23, s0
	s_mul_i32 s2, s0, s2
	s_sub_i32 s2, s12, s2
	s_add_i32 s2, s2, s1
	s_sub_i32 s2, s2, s15
.LBB1_9:
	s_mov_b32 s12, s2
	s_mov_b32 s2, s0
.LBB1_10:
	s_waitcnt lgkmcnt(0)
	s_mul_i32 s0, s13, s3
	s_ashr_i32 s1, s0, 31
	s_lshl_b64 s[24:25], s[0:1], 3
	s_add_u32 s0, s4, s24
	s_addc_u32 s1, s5, s25
	s_add_u32 s4, s6, s24
	s_addc_u32 s5, s7, s25
	s_add_i32 s15, s22, -1
	s_mul_i32 s22, s15, s13
	v_lshrrev_b32_e32 v87, 1, v0
	s_add_i32 s6, s16, 0x1fffffff
	s_add_i32 s7, s17, 0x1fffffff
	s_sub_i32 s18, s18, s22
	v_lshlrev_b32_e32 v1, 2, v0
	v_and_b32_e32 v88, 62, v87
	s_cmp_lt_u32 s3, s15
	v_and_b32_e32 v83, 12, v1
	v_lshl_or_b32 v1, s12, 6, v88
	s_cselect_b32 s15, s13, s18
	s_lshl_b32 s13, s2, 6
	v_mul_lo_u32 v86, v1, s19
	v_bitop3_b32 v84, v87, v83, 14 bitop3:0x6c
	v_lshlrev_b32_e32 v1, 6, v88
	s_ashr_i32 s2, s14, 31
	v_lshl_or_b32 v85, v84, 2, v1
	v_or_b32_e32 v1, s13, v88
	s_lshr_b32 s2, s2, 28
	v_lshlrev_b32_e32 v2, 2, v83
	v_mul_lo_u32 v89, v1, s20
	v_and_b32_e32 v82, 15, v0
	v_lshrrev_b32_e32 v1, 2, v0
	s_add_i32 s14, s14, s2
	s_mul_i32 s6, s6, s19
	s_mul_i32 s7, s7, s20
	v_add_u32_e32 v93, v86, v2
	v_add_u32_e32 v92, v89, v2
	v_and_b32_e32 v90, 12, v1
	v_bitop3_b32 v91, v1, v82, 12 bitop3:0x6c
	s_ashr_i32 s14, s14, 4
	v_and_b32_e32 v95, 14, v87
	; sched_barrier mask(0x00000000)
	v_add_u32_e32 v26, 12, v93
	s_add_i32 s2, s15, s6
	v_add_lshl_u32 v42, v26, s19, 3
	s_lshl_b32 s2, s2, 3
	s_and_b32 s1, s1, 0xffff
	s_mov_b32 s3, 0x20000
	v_lshlrev_b32_e32 v144, 3, v93
	v_lshlrev_b32_e32 v6, 3, v26
	v_subrev_u32_e32 v43, 64, v42
	buffer_load_dwordx4 v[96:99], v144, s[0:3], 0 offen
	buffer_load_dwordx4 v[100:103], v144, s[0:3], 0 offen offset:16
	buffer_load_dwordx4 v[18:21], v144, s[0:3], 0 offen offset:32
	;; [unrolled: 1-line block ×6, first 2 shown]
	v_add_u32_e32 v34, -16, v42
	buffer_load_dwordx4 v[6:9], v6, s[0:3], 0 offen
	s_nop 0
	buffer_load_dwordx4 v[26:29], v42, s[0:3], 0 offen
	buffer_load_dwordx4 v[30:33], v42, s[0:3], 0 offen offset:16
	v_subrev_u32_e32 v38, 32, v42
	buffer_load_dwordx4 v[62:65], v43, s[0:3], 0 offen
	v_subrev_u32_e32 v43, 48, v42
	v_add_u32_e32 v42, 0xffffffb0, v42
	buffer_load_dwordx4 v[66:69], v43, s[0:3], 0 offen
	buffer_load_dwordx4 v[104:107], v42, s[0:3], 0 offen
	v_add_lshl_u32 v42, v93, s19, 3
	buffer_load_dwordx4 v[108:111], v42, s[0:3], 0 offen
	s_add_i32 s15, s15, s7
	buffer_load_dwordx4 v[34:37], v34, s[0:3], 0 offen
	v_add_u32_e32 v112, 12, v92
	buffer_load_dwordx4 v[38:41], v38, s[0:3], 0 offen
	s_lshl_b32 s6, s15, 3
	s_and_b32 s5, s5, 0xffff
	s_mov_b32 s7, s3
	v_lshlrev_b32_e32 v94, 3, v92
	v_lshlrev_b32_e32 v78, 3, v112
	v_add_lshl_u32 v136, v112, s20, 3
	buffer_load_dwordx4 v[70:73], v94, s[4:7], 0 offen
	buffer_load_dwordx4 v[74:77], v94, s[4:7], 0 offen offset:16
	buffer_load_dwordx4 v[46:49], v94, s[4:7], 0 offen offset:32
	;; [unrolled: 1-line block ×6, first 2 shown]
	v_add_u32_e32 v120, -16, v136
	buffer_load_dwordx4 v[78:81], v78, s[4:7], 0 offen
	s_nop 0
	buffer_load_dwordx4 v[112:115], v136, s[4:7], 0 offen
	buffer_load_dwordx4 v[116:119], v136, s[4:7], 0 offen offset:16
	v_subrev_u32_e32 v124, 32, v136
	v_subrev_u32_e32 v128, 64, v136
	v_subrev_u32_e32 v132, 48, v136
	v_add_u32_e32 v136, 0xffffffb0, v136
	buffer_load_dwordx4 v[136:139], v136, s[4:7], 0 offen
	v_add_lshl_u32 v140, v92, s20, 3
	buffer_load_dwordx4 v[120:123], v120, s[4:7], 0 offen
	v_lshlrev_b32_e32 v145, 3, v85
	buffer_load_dwordx4 v[140:143], v140, s[4:7], 0 offen
	s_movk_i32 s22, 0x200
	buffer_load_dwordx4 v[124:127], v124, s[4:7], 0 offen
	s_mov_b32 s15, s6
	buffer_load_dwordx4 v[128:131], v128, s[4:7], 0 offen
	s_waitcnt vmcnt(30)
	ds_write_b128 v145, v[96:99]
	buffer_load_dwordx4 v[132:135], v132, s[4:7], 0 offen
	v_bitop3_b32 v98, v95, v83, 1 bitop3:0x36
	v_or_b32_e32 v96, 16, v145
	v_sub_u32_e32 v99, v98, v84
	s_waitcnt vmcnt(30)
	ds_write_b128 v145, v[100:103] offset:16
	v_lshl_add_u32 v100, v99, 2, v85
	v_lshl_add_u32 v96, v99, 5, v96
	v_bitop3_b32 v99, v95, v83, 1 bitop3:0x14
	v_sub_u32_e32 v98, v99, v98
	v_lshl_add_u32 v101, v98, 5, v96
	s_waitcnt vmcnt(19)
	ds_write_b128 v96, v[104:107] offset:512
	s_waitcnt vmcnt(18)
	ds_write_b128 v96, v[108:111] offset:496
	ds_write_b128 v101, v[62:65] offset:496
	v_bitop3_b32 v63, v83, v95, 1 bitop3:0x36
	v_lshl_add_u32 v62, v98, 2, v100
	v_sub_u32_e32 v64, v63, v99
	v_lshl_add_u32 v62, v64, 2, v62
	v_lshlrev_b32_e32 v64, 5, v64
	v_add_u32_e32 v65, v101, v64
	ds_write_b128 v101, v[66:69] offset:512
	ds_write_b128 v65, v[22:25]
	v_add_u32_e32 v22, -16, v65
	ds_write_b128 v22, v[18:21]
	v_bitop3_b32 v19, v83, v95, 2 bitop3:0x36
	v_sub_u32_e32 v20, v19, v63
	v_lshlrev_b32_e32 v21, 5, v20
	v_add_u32_e32 v22, v22, v21
	ds_write_b128 v22, v[14:17]
	v_add_u32_e32 v15, v65, v21
	v_or_b32_e32 v97, 1, v95
	ds_write_b128 v15, v[10:13]
	v_or_b32_e32 v10, 3, v83
	v_bitop3_b32 v11, v83, v97, 2 bitop3:0x36
	v_bitop3_b32 v16, v95, v10, 1 bitop3:0x36
	v_sub_u32_e32 v12, v11, v19
	v_sub_u32_e32 v11, v16, v11
	v_lshl_add_u32 v14, v20, 2, v62
	v_lshlrev_b32_e32 v13, 2, v12
	v_lshlrev_b32_e32 v17, 2, v11
	v_lshl_add_u32 v12, v12, 5, v15
	v_add3_u32 v13, v13, v14, v17
	v_lshl_add_u32 v14, v11, 5, v12
	v_bitop3_b32 v11, v83, v95, 3 bitop3:0x36
	v_sub_u32_e32 v15, v11, v16
	v_sub_u32_e32 v11, v84, v11
	v_lshlrev_b32_e32 v16, 2, v15
	v_lshlrev_b32_e32 v11, 2, v11
	v_add3_u32 v11, v13, v16, v11
	v_lshlrev_b32_e32 v13, 5, v15
	v_add_u32_e32 v15, v14, v13
	s_waitcnt vmcnt(17)
	ds_write_b128 v12, v[34:37] offset:512
	s_waitcnt vmcnt(16)
	ds_write_b128 v12, v[38:41] offset:496
	ds_write_b128 v14, v[26:29] offset:496
	;; [unrolled: 1-line block ×3, first 2 shown]
	ds_write_b128 v15, v[2:5]
	v_add_u32_e32 v2, -16, v15
	ds_write_b128 v2, v[6:9]
	s_waitcnt vmcnt(15)
	ds_write_b128 v145, v[70:73] offset:32768
	s_waitcnt vmcnt(14)
	ds_write_b128 v145, v[74:77] offset:32784
	;; [unrolled: 2-line block ×6, first 2 shown]
	v_add3_u32 v2, v101, s22, v64
	ds_write_b128 v2, v[58:61] offset:32256
	ds_write_b128 v2, v[46:49] offset:32240
	v_add_u32_e32 v2, v2, v21
	ds_write_b128 v2, v[50:53] offset:32240
	ds_write_b128 v2, v[54:57] offset:32256
	ds_write_b128 v12, v[120:123] offset:33280
	ds_write_b128 v12, v[124:127] offset:33264
	ds_write_b128 v14, v[112:115] offset:33264
	ds_write_b128 v14, v[116:119] offset:33280
	v_add3_u32 v2, v14, s22, v13
	ds_write_b128 v2, v[42:45] offset:32256
	ds_write_b128 v2, v[78:81] offset:32240
	v_add_u32_e32 v2, 0x4c, v93
	v_lshlrev_b32_e32 v3, 3, v2
	v_add_lshl_u32 v2, v2, s19, 3
	buffer_load_dwordx4 v[116:119], v144, s[0:3], 0 offen offset:512
	buffer_load_dwordx4 v[120:123], v144, s[0:3], 0 offen offset:528
	;; [unrolled: 1-line block ×7, first 2 shown]
	buffer_load_dwordx4 v[152:155], v3, s[0:3], 0 offen
	v_add_u32_e32 v3, -16, v2
	buffer_load_dwordx4 v[156:159], v2, s[0:3], 0 offen
	buffer_load_dwordx4 v[160:163], v2, s[0:3], 0 offen offset:16
	buffer_load_dwordx4 v[168:171], v3, s[0:3], 0 offen
	v_subrev_u32_e32 v3, 32, v2
	buffer_load_dwordx4 v[172:175], v3, s[0:3], 0 offen
	v_subrev_u32_e32 v3, 64, v2
	;; [unrolled: 2-line block ×3, first 2 shown]
	buffer_load_dwordx4 v[228:231], v3, s[0:3], 0 offen
	v_add_u32_e32 v3, 0xffffffb0, v2
	v_add_u32_e32 v2, 0xffffffa0, v2
	buffer_load_dwordx4 a[64:67], v3, s[0:3], 0 offen
	buffer_load_dwordx4 v[252:255], v2, s[0:3], 0 offen
	buffer_load_dwordx4 v[144:147], v94, s[4:7], 0 offen offset:512
	buffer_load_dwordx4 v[148:151], v94, s[4:7], 0 offen offset:528
	;; [unrolled: 1-line block ×7, first 2 shown]
	v_add_u32_e32 v2, 0x4c, v92
	v_lshlrev_b32_e32 v3, 3, v2
	v_add_lshl_u32 v2, v2, s20, 3
	buffer_load_dwordx4 v[192:195], v3, s[4:7], 0 offen
	v_add_u32_e32 v3, -16, v2
	buffer_load_dwordx4 a[148:151], v2, s[4:7], 0 offen
	buffer_load_dwordx4 a[152:155], v2, s[4:7], 0 offen offset:16
	buffer_load_dwordx4 a[168:171], v3, s[4:7], 0 offen
	v_subrev_u32_e32 v3, 32, v2
	buffer_load_dwordx4 a[180:183], v3, s[4:7], 0 offen
	v_subrev_u32_e32 v3, 64, v2
	;; [unrolled: 2-line block ×3, first 2 shown]
	buffer_load_dwordx4 a[204:207], v3, s[4:7], 0 offen
	v_add_u32_e32 v3, 0xffffffb0, v2
	v_add_u32_e32 v2, 0xffffffa0, v2
	buffer_load_dwordx4 a[216:219], v3, s[4:7], 0 offen
	buffer_load_dwordx4 a[220:223], v2, s[4:7], 0 offen
	v_bitop3_b32 v4, v90, v82, 1 bitop3:0x36
	v_bitop3_b32 v6, v90, v82, 2 bitop3:0x36
	;; [unrolled: 1-line block ×3, first 2 shown]
	v_lshlrev_b32_e32 v3, 5, v91
	v_and_or_b32 v2, v1, 16, v82
	v_sub_u32_e32 v4, v4, v91
	v_sub_u32_e32 v6, v6, v91
	;; [unrolled: 1-line block ×3, first 2 shown]
	v_lshl_or_b32 v2, v2, 9, v3
	v_lshl_or_b32 v3, v82, 9, v3
	v_lshlrev_b32_e32 v5, 5, v4
	v_lshlrev_b32_e32 v7, 5, v6
	;; [unrolled: 1-line block ×3, first 2 shown]
	v_add_u32_e32 v4, v2, v5
	v_add_u32_e32 v5, v3, v5
	;; [unrolled: 1-line block ×6, first 2 shown]
	s_waitcnt lgkmcnt(0)
	s_barrier
	ds_read_b128 a[192:195], v2
	ds_read_b128 a[156:159], v2 offset:16
	ds_read_b128 v[184:187], v2 offset:16400
	ds_read_b128 a[84:87], v2 offset:16384
	ds_read_b128 a[208:211], v3 offset:32768
	ds_read_b128 a[184:187], v3 offset:32784
	ds_read_b128 a[176:179], v3 offset:40976
	ds_read_b128 a[212:215], v3 offset:40960
	ds_read_b128 a[172:175], v3 offset:49168
	ds_read_b128 a[200:203], v3 offset:49152
	ds_read_b128 a[80:83], v3 offset:57360
	ds_read_b128 a[188:191], v3 offset:57344
	ds_read_b128 a[92:95], v4
	ds_read_b128 v[232:235], v4 offset:16
	ds_read_b128 v[180:183], v4 offset:16400
	ds_read_b128 v[240:243], v4 offset:16384
	ds_read_b128 a[132:135], v5 offset:32768
	ds_read_b128 a[96:99], v5 offset:32784
	ds_read_b128 a[112:115], v5 offset:40976
	ds_read_b128 a[144:147], v5 offset:40960
	ds_read_b128 a[128:131], v5 offset:49168
	ds_read_b128 a[164:167], v5 offset:49152
	ds_read_b128 v[244:247], v5 offset:57360
	ds_read_b128 a[160:163], v5 offset:57344
	;; [unrolled: 12-line block ×4, first 2 shown]
	v_or_b32_e32 v85, 1, v83
	v_or_b32_e32 v18, 2, v83
	; sched_barrier mask(0x00000000)
	v_or_b32_e32 v12, 1, v87
	s_max_i32 s6, s14, 2
	v_sub_u32_e32 v17, v12, v88
	v_and_b32_e32 v14, 3, v0
	v_mov_b64_e32 v[24:25], 0
	v_lshlrev_b32_e32 v13, 6, v17
	v_lshlrev_b32_e32 v14, 7, v14
	v_add_lshl_u32 v15, v89, s20, 3
	v_lshlrev_b32_e32 v16, 3, v89
	v_add_u32_e32 v17, -1, v17
	v_add_lshl_u32 v19, v86, s19, 3
	v_lshlrev_b32_e32 v20, 3, v86
	s_add_i32 s14, s6, -1
	v_not_b32_e32 v21, 63
	s_mov_b32 s6, s15
	v_mov_b32_e32 v22, v11
	v_mov_b64_e32 v[26:27], v[24:25]
	v_mov_b64_e32 v[28:29], v[24:25]
	;; [unrolled: 1-line block ×31, first 2 shown]
.LBB1_11:                               ; =>This Inner Loop Header: Depth=1
	v_ashrrev_i32_e32 v80, 31, v12
	v_lshlrev_b32_e32 v23, 3, v22
	v_lshrrev_b32_e32 v80, 28, v80
	s_waitcnt lgkmcnt(0)
	s_barrier
	s_waitcnt vmcnt(31)
	ds_write_b128 v23, v[116:119]
	v_add_u32_e32 v80, v12, v80
	v_add_u32_e32 v118, -1, v12
	v_and_b32_e32 v80, -16, v80
	v_ashrrev_i32_e32 v119, 31, v118
	v_sub_u32_e32 v80, v12, v80
	v_lshrrev_b32_e32 v119, 28, v119
	v_xor_b32_e32 v81, v80, v83
	v_add_u32_e32 v119, v118, v119
	v_sub_u32_e32 v84, v81, v84
	v_and_b32_e32 v119, -16, v119
	v_lshl_add_u32 v94, v84, 2, v13
	v_xor_b32_e32 v84, v80, v85
	v_sub_u32_e32 v118, v118, v119
	v_lshlrev_b32_e32 v95, 3, v94
	v_sub_u32_e32 v81, v84, v81
	v_xor_b32_e32 v119, v118, v85
	s_waitcnt vmcnt(30)
	ds_write_b128 v23, v[120:123] offset:16
	v_add_u32_e32 v23, v23, v95
	v_lshlrev_b32_e32 v116, 2, v81
	v_lshlrev_b32_e32 v81, 5, v81
	v_sub_u32_e32 v120, v119, v84
	s_waitcnt vmcnt(17)
	ds_write_b128 v23, a[64:67] offset:16
	s_waitcnt vmcnt(16)
	ds_write_b128 v23, v[252:255]
	v_add_u32_e32 v23, v23, v81
	v_lshl_add_u32 v121, v120, 2, v21
	v_add_u32_e32 v117, 16, v23
	v_lshlrev_b32_e32 v84, 3, v121
	ds_write_b128 v23, v[224:227]
	ds_write_b128 v23, v[228:231] offset:16
	v_add_u32_e32 v117, v117, v84
	v_add_u32_e32 v23, v23, v84
	v_xor_b32_e32 v84, v118, v18
	ds_write_b128 v23, v[108:111]
	v_sub_u32_e32 v108, v84, v119
	v_lshlrev_b32_e32 v109, 2, v108
	v_lshlrev_b32_e32 v108, 5, v108
	v_add_u32_e32 v23, v23, v108
	ds_write_b128 v23, v[100:103]
	v_xor_b32_e32 v100, v80, v18
	v_sub_u32_e32 v84, v100, v84
	v_lshlrev_b32_e32 v102, 5, v84
	ds_write_b128 v117, v[112:115]
	ds_write_b128 v23, v[104:107] offset:16
	v_add_u32_e32 v23, v23, v102
	v_lshl_add_u32 v101, v84, 2, 64
	ds_write_b128 v23, v[168:171] offset:528
	v_add_u32_e32 v84, 0x200, v23
	ds_write_b128 v23, v[172:175] offset:512
	v_xor_b32_e32 v23, v80, v10
	v_sub_u32_e32 v80, v23, v100
	v_xor_b32_e32 v104, v118, v10
	v_lshlrev_b32_e32 v100, 2, v80
	v_lshlrev_b32_e32 v80, 5, v80
	v_sub_u32_e32 v23, v104, v23
	v_add_u32_e32 v84, v84, v80
	v_lshl_add_u32 v105, v23, 2, v21
	v_add_u32_e32 v103, 16, v84
	v_lshlrev_b32_e32 v106, 3, v105
	v_add_u32_e32 v103, v103, v106
	ds_write_b128 v84, v[160:163] offset:16
	ds_write_b128 v103, v[96:99]
	v_lshlrev_b32_e32 v97, 3, v11
	v_add_u32_e32 v95, v95, v97
	ds_write_b128 v84, v[156:159]
	v_add_u32_e32 v84, v84, v106
	v_add_u32_e32 v81, v95, v81
	ds_write_b128 v84, v[152:155]
	s_waitcnt vmcnt(15)
	ds_write_b128 v97, v[144:147] offset:32768
	s_waitcnt vmcnt(14)
	ds_write_b128 v97, v[148:151] offset:32784
	;; [unrolled: 2-line block ×4, first 2 shown]
	ds_write_b128 v81, a[196:199] offset:32768
	ds_write_b128 v81, a[204:207] offset:32784
	v_lshl_add_u32 v81, v120, 5, v81
	ds_write_b128 v81, v[140:143] offset:32272
	ds_write_b128 v81, v[128:131] offset:32256
	v_add_u32_e32 v81, v81, v108
	ds_write_b128 v81, v[132:135] offset:32256
	ds_write_b128 v81, v[136:139] offset:32272
	v_add_u32_e32 v81, v81, v102
	v_add_u32_e32 v80, v81, v80
	v_lshl_add_u32 v23, v23, 5, v80
	v_accvgpr_write_b32 a56, v86
	ds_write_b128 v81, a[168:171] offset:32784
	ds_write_b128 v81, a[180:183] offset:32768
	;; [unrolled: 1-line block ×6, first 2 shown]
	v_add_u32_e32 v23, v14, v20
	v_accvgpr_write_b32 a57, v87
	v_accvgpr_write_b32 a58, v88
	;; [unrolled: 1-line block ×7, first 2 shown]
	v_add3_u32 v22, v22, v94, v116
	v_xor_b32_e32 v84, v118, v83
	v_add3_u32 v11, v94, v11, v116
	buffer_load_dwordx4 v[116:119], v23, s[0:3], 0 offen offset:1024
	v_mfma_f64_16x16x4_f64 a[56:63], a[192:193], a[208:209], a[56:63]
	v_accvgpr_write_b32 a48, v72
	v_accvgpr_write_b32 a49, v73
	;; [unrolled: 1-line block ×8, first 2 shown]
	v_add3_u32 v22, v22, v121, v109
	v_add3_u32 v11, v11, v121, v109
	v_accvgpr_write_b32 a32, v64
	v_accvgpr_write_b32 a33, v65
	;; [unrolled: 1-line block ×5, first 2 shown]
	v_mfma_f64_16x16x4_f64 a[56:63], a[194:195], a[210:211], a[56:63]
	v_accvgpr_write_b32 a37, v69
	v_accvgpr_write_b32 a38, v70
	;; [unrolled: 1-line block ×11, first 2 shown]
	v_add3_u32 v22, v22, v101, v100
	v_add3_u32 v11, v11, v101, v100
	v_sub_u32_e32 v96, v84, v104
	v_accvgpr_write_b32 a0, v48
	v_mfma_f64_16x16x4_f64 a[56:63], a[156:157], a[184:185], a[56:63]
	buffer_load_dwordx4 v[120:123], v23, s[0:3], 0 offen offset:1040
	; sched_group_barrier mask(0x00000020) size(1) SyncID(0)
	; sched_group_barrier mask(0x00000008) size(3) SyncID(0)
	; sched_group_barrier mask(0x00000020) size(1) SyncID(0)
	v_lshlrev_b32_e32 v96, 2, v96
	v_accvgpr_write_b32 a1, v49
	v_accvgpr_write_b32 a2, v50
	;; [unrolled: 1-line block ×7, first 2 shown]
	v_add3_u32 v22, v22, v105, v96
	v_add3_u32 v11, v11, v105, v96
	v_accvgpr_write_b32 a8, v40
	v_accvgpr_write_b32 a9, v41
	;; [unrolled: 1-line block ×24, first 2 shown]
	v_mfma_f64_16x16x4_f64 a[48:55], a[192:193], a[212:213], a[48:55]
	v_mfma_f64_16x16x4_f64 a[56:63], a[158:159], a[186:187], a[56:63]
	v_mfma_f64_16x16x4_f64 a[48:55], a[194:195], a[214:215], a[48:55]
	buffer_load_dwordx4 v[108:111], v23, s[0:3], 0 offen offset:1056
	; sched_group_barrier mask(0x00000008) size(3) SyncID(0)
	; sched_group_barrier mask(0x00000020) size(1) SyncID(0)
	v_mfma_f64_16x16x4_f64 a[32:39], a[192:193], a[200:201], a[32:39]
	v_mfma_f64_16x16x4_f64 a[48:55], a[156:157], a[176:177], a[48:55]
	v_mfma_f64_16x16x4_f64 a[48:55], a[158:159], a[178:179], a[48:55]
	buffer_load_dwordx4 v[112:115], v23, s[0:3], 0 offen offset:1072
	; sched_group_barrier mask(0x00000008) size(3) SyncID(0)
	; sched_group_barrier mask(0x00000020) size(1) SyncID(0)
	v_mfma_f64_16x16x4_f64 a[32:39], a[194:195], a[202:203], a[32:39]
	v_mfma_f64_16x16x4_f64 a[32:39], a[156:157], a[172:173], a[32:39]
	v_mfma_f64_16x16x4_f64 a[32:39], a[158:159], a[174:175], a[32:39]
	buffer_load_dwordx4 v[100:103], v23, s[0:3], 0 offen offset:1088
	; sched_group_barrier mask(0x00000008) size(3) SyncID(0)
	; sched_group_barrier mask(0x00000020) size(1) SyncID(0)
	v_mfma_f64_16x16x4_f64 a[40:47], a[192:193], a[188:189], a[40:47]
	v_mfma_f64_16x16x4_f64 a[40:47], a[194:195], a[190:191], a[40:47]
	v_mfma_f64_16x16x4_f64 a[40:47], a[156:157], a[80:81], a[40:47]
	buffer_load_dwordx4 v[104:107], v23, s[0:3], 0 offen offset:1104
	; sched_group_barrier mask(0x00000008) size(3) SyncID(0)
	; sched_group_barrier mask(0x00000020) size(1) SyncID(0)
	v_mfma_f64_16x16x4_f64 a[0:7], a[84:85], a[208:209], a[0:7]
	v_mfma_f64_16x16x4_f64 a[40:47], a[158:159], a[82:83], a[40:47]
	v_mfma_f64_16x16x4_f64 a[0:7], a[86:87], a[210:211], a[0:7]
	buffer_load_dwordx4 v[96:99], v23, s[0:3], 0 offen offset:1136
	; sched_group_barrier mask(0x00000008) size(3) SyncID(0)
	; sched_group_barrier mask(0x00000020) size(1) SyncID(0)
	v_mfma_f64_16x16x4_f64 a[8:15], a[84:85], a[212:213], a[8:15]
	v_mfma_f64_16x16x4_f64 a[0:7], v[184:185], a[184:185], a[0:7]
	v_mfma_f64_16x16x4_f64 a[0:7], v[186:187], a[186:187], a[0:7]
	buffer_load_dwordx4 v[152:155], v23, s[0:3], 0 offen offset:1120
	; sched_group_barrier mask(0x00000008) size(3) SyncID(0)
	; sched_group_barrier mask(0x00000020) size(1) SyncID(0)
	v_add_u32_e32 v23, v14, v19
	v_mfma_f64_16x16x4_f64 a[8:15], a[86:87], a[214:215], a[8:15]
	v_mfma_f64_16x16x4_f64 a[8:15], v[184:185], a[176:177], a[8:15]
	v_mfma_f64_16x16x4_f64 a[8:15], v[186:187], a[178:179], a[8:15]
	buffer_load_dwordx4 v[156:159], v23, s[0:3], 0 offen offset:1120
	; sched_group_barrier mask(0x00000008) size(3) SyncID(0)
	; sched_group_barrier mask(0x00000020) size(1) SyncID(0)
	v_mfma_f64_16x16x4_f64 a[16:23], a[84:85], a[200:201], a[16:23]
	v_mfma_f64_16x16x4_f64 a[16:23], a[86:87], a[202:203], a[16:23]
	v_mfma_f64_16x16x4_f64 a[16:23], v[184:185], a[172:173], a[16:23]
	buffer_load_dwordx4 v[160:163], v23, s[0:3], 0 offen offset:1136
	; sched_group_barrier mask(0x00000008) size(3) SyncID(0)
	; sched_group_barrier mask(0x00000020) size(1) SyncID(0)
	v_mfma_f64_16x16x4_f64 a[24:31], a[84:85], a[188:189], a[24:31]
	v_mfma_f64_16x16x4_f64 a[16:23], v[186:187], a[174:175], a[16:23]
	v_mfma_f64_16x16x4_f64 a[24:31], a[86:87], a[190:191], a[24:31]
	buffer_load_dwordx4 v[168:171], v23, s[0:3], 0 offen offset:1104
	; sched_group_barrier mask(0x00000008) size(3) SyncID(0)
	; sched_group_barrier mask(0x00000020) size(1) SyncID(0)
	v_mfma_f64_16x16x4_f64 a[56:63], a[92:93], a[132:133], a[56:63]
	v_mfma_f64_16x16x4_f64 a[24:31], v[184:185], a[80:81], a[24:31]
	v_mfma_f64_16x16x4_f64 a[24:31], v[186:187], a[82:83], a[24:31]
	buffer_load_dwordx4 v[172:175], v23, s[0:3], 0 offen offset:1088
	; sched_group_barrier mask(0x00000008) size(3) SyncID(0)
	; sched_group_barrier mask(0x00000020) size(1) SyncID(0)
	v_mfma_f64_16x16x4_f64 a[56:63], a[94:95], a[134:135], a[56:63]
	v_mfma_f64_16x16x4_f64 a[56:63], v[232:233], a[96:97], a[56:63]
	v_mfma_f64_16x16x4_f64 a[56:63], v[234:235], a[98:99], a[56:63]
	buffer_load_dwordx4 v[252:255], v23, s[0:3], 0 offen offset:1024
	; sched_group_barrier mask(0x00000008) size(3) SyncID(0)
	; sched_group_barrier mask(0x00000020) size(1) SyncID(0)
	v_mfma_f64_16x16x4_f64 a[48:55], a[92:93], a[144:145], a[48:55]
	v_mfma_f64_16x16x4_f64 a[48:55], a[94:95], a[146:147], a[48:55]
	v_mfma_f64_16x16x4_f64 a[48:55], v[232:233], a[112:113], a[48:55]
	buffer_load_dwordx4 a[64:67], v23, s[0:3], 0 offen offset:1040
	; sched_group_barrier mask(0x00000008) size(3) SyncID(0)
	; sched_group_barrier mask(0x00000020) size(1) SyncID(0)
	v_mfma_f64_16x16x4_f64 a[32:39], a[92:93], a[164:165], a[32:39]
	v_mfma_f64_16x16x4_f64 a[48:55], v[234:235], a[114:115], a[48:55]
	v_mfma_f64_16x16x4_f64 a[32:39], a[94:95], a[166:167], a[32:39]
	buffer_load_dwordx4 v[224:227], v23, s[0:3], 0 offen offset:1056
	; sched_group_barrier mask(0x00000008) size(3) SyncID(0)
	; sched_group_barrier mask(0x00000020) size(1) SyncID(0)
	v_mfma_f64_16x16x4_f64 a[40:47], a[92:93], a[160:161], a[40:47]
	v_mfma_f64_16x16x4_f64 a[32:39], v[232:233], a[128:129], a[32:39]
	v_mfma_f64_16x16x4_f64 a[32:39], v[234:235], a[130:131], a[32:39]
	buffer_load_dwordx4 v[228:231], v23, s[0:3], 0 offen offset:1072
	; sched_group_barrier mask(0x00000008) size(3) SyncID(0)
	; sched_group_barrier mask(0x00000020) size(1) SyncID(0)
	v_add_u32_e32 v23, v14, v16
	v_mfma_f64_16x16x4_f64 a[40:47], a[94:95], a[162:163], a[40:47]
	v_mfma_f64_16x16x4_f64 a[40:47], v[232:233], v[244:245], a[40:47]
	v_mfma_f64_16x16x4_f64 a[40:47], v[234:235], v[246:247], a[40:47]
	buffer_load_dwordx4 v[144:147], v23, s[4:7], 0 offen offset:1024
	; sched_group_barrier mask(0x00000008) size(3) SyncID(0)
	; sched_group_barrier mask(0x00000020) size(1) SyncID(0)
	v_mfma_f64_16x16x4_f64 a[0:7], v[240:241], a[132:133], a[0:7]
	v_mfma_f64_16x16x4_f64 a[0:7], v[242:243], a[134:135], a[0:7]
	v_mfma_f64_16x16x4_f64 a[0:7], v[180:181], a[96:97], a[0:7]
	buffer_load_dwordx4 v[148:151], v23, s[4:7], 0 offen offset:1040
	; sched_group_barrier mask(0x00000008) size(3) SyncID(0)
	; sched_group_barrier mask(0x00000020) size(1) SyncID(0)
	;; [unrolled: 49-line block ×3, first 2 shown]
	v_mfma_f64_16x16x4_f64 a[40:47], v[248:249], a[136:137], a[40:47]
	v_mfma_f64_16x16x4_f64 a[32:39], v[206:207], a[106:107], a[32:39]
	v_mfma_f64_16x16x4_f64 a[40:47], v[250:251], a[138:139], a[40:47]
	buffer_load_dwordx4 a[168:171], v23, s[4:7], 0 offen offset:1104
	; sched_group_barrier mask(0x00000008) size(3) SyncID(0)
	; sched_group_barrier mask(0x00000020) size(1) SyncID(0)
	v_mfma_f64_16x16x4_f64 a[0:7], v[208:209], a[108:109], a[0:7]
	v_mfma_f64_16x16x4_f64 a[32:39], v[216:217], a[120:121], a[32:39]
	v_mfma_f64_16x16x4_f64 a[40:47], v[204:205], v[212:213], a[40:47]
	v_mfma_f64_16x16x4_f64 a[32:39], v[218:219], a[122:123], a[32:39]
	v_mfma_f64_16x16x4_f64 a[40:47], v[206:207], v[214:215], a[40:47]
	buffer_load_dwordx4 a[180:183], v23, s[4:7], 0 offen offset:1088
	; sched_group_barrier mask(0x00000008) size(3) SyncID(0)
	; sched_group_barrier mask(0x00000020) size(1) SyncID(0)
	v_mfma_f64_16x16x4_f64 a[0:7], v[210:211], a[110:111], a[0:7]
	v_mfma_f64_16x16x4_f64 a[32:39], v[188:189], a[72:73], a[32:39]
	v_mfma_f64_16x16x4_f64 a[40:47], v[216:217], a[116:117], a[40:47]
	v_mfma_f64_16x16x4_f64 a[0:7], v[176:177], a[68:69], a[0:7]
	v_mfma_f64_16x16x4_f64 a[32:39], v[190:191], a[74:75], a[32:39]
	v_mfma_f64_16x16x4_f64 a[40:47], v[218:219], a[118:119], a[40:47]
	v_mfma_f64_16x16x4_f64 a[0:7], v[178:179], a[70:71], a[0:7]
	buffer_load_dwordx4 a[220:223], v23, s[4:7], 0 offen offset:1024
	; sched_group_barrier mask(0x00000008) size(3) SyncID(0)
	; sched_group_barrier mask(0x00000020) size(1) SyncID(0)
	v_mfma_f64_16x16x4_f64 a[8:15], v[208:209], a[124:125], a[8:15]
	v_mfma_f64_16x16x4_f64 a[40:47], v[188:189], v[200:201], a[40:47]
	;; [unrolled: 10-line block ×3, first 2 shown]
	v_mfma_f64_16x16x4_f64 a[8:15], v[178:179], a[90:91], a[8:15]
	v_mfma_f64_16x16x4_f64 a[16:23], v[210:211], a[142:143], a[16:23]
	buffer_load_dwordx4 a[196:199], v23, s[4:7], 0 offen offset:1056
	; sched_group_barrier mask(0x00000008) size(3) SyncID(0)
	; sched_group_barrier mask(0x00000020) size(1) SyncID(0)
	v_mfma_f64_16x16x4_f64 a[24:31], v[208:209], a[136:137], a[24:31]
	v_mfma_f64_16x16x4_f64 a[0:7], v[166:167], v[222:223], a[0:7]
	;; [unrolled: 1-line block ×6, first 2 shown]
	buffer_load_dwordx4 a[204:207], v23, s[4:7], 0 offen offset:1072
	s_waitcnt lgkmcnt(0)
	s_barrier
	ds_read_b128 a[92:95], v4
	ds_read_b128 v[232:235], v4 offset:16
	ds_read_b128 v[240:243], v4 offset:16384
	ds_read_b128 v[180:183], v4 offset:16400
	ds_read_b128 a[132:135], v5 offset:32768
	ds_read_b128 a[96:99], v5 offset:32784
	ds_read_b128 a[144:147], v5 offset:40960
	ds_read_b128 a[112:115], v5 offset:40976
	ds_read_b128 a[128:131], v5 offset:49168
	ds_read_b128 a[164:167], v5 offset:49152
	ds_read_b128 v[244:247], v5 offset:57360
	ds_read_b128 a[160:163], v5 offset:57344
	ds_read_b128 v[248:251], v6
	ds_read_b128 v[204:207], v6 offset:16
	ds_read_b128 a[108:111], v7 offset:32768
	;; [unrolled: 1-line block ×7, first 2 shown]
	; sched_group_barrier mask(0x00000008) size(3) SyncID(0)
	; sched_group_barrier mask(0x00000020) size(1) SyncID(0)
	v_mfma_f64_16x16x4_f64 a[24:31], v[210:211], a[138:139], a[24:31]
	ds_read_b128 v[208:211], v6 offset:16384
	ds_read_b128 a[136:139], v7 offset:57344
	v_mfma_f64_16x16x4_f64 a[16:23], v[196:197], a[120:121], a[16:23]
	v_mfma_f64_16x16x4_f64 a[8:15], v[164:165], v[236:237], a[8:15]
	;; [unrolled: 1-line block ×4, first 2 shown]
	ds_read_b128 a[120:123], v9 offset:49152
	v_mfma_f64_16x16x4_f64 a[8:15], v[166:167], v[238:239], a[8:15]
	v_mfma_f64_16x16x4_f64 a[24:31], v[178:179], v[214:215], a[24:31]
	ds_read_b128 a[192:195], v2
	ds_read_b128 a[156:159], v2 offset:16
	ds_read_b128 v[176:179], v6 offset:16400
	;; [unrolled: 1-line block ×3, first 2 shown]
	; sched_group_barrier mask(0x00000008) size(3) SyncID(0)
	; sched_group_barrier mask(0x00000100) size(2) SyncID(0)
	v_mfma_f64_16x16x4_f64 a[56:63], v[216:217], a[76:77], a[56:63]
	ds_read_b128 v[184:187], v2 offset:16400
	ds_read_b128 a[84:87], v2 offset:16384
	; sched_group_barrier mask(0x00000008) size(1) SyncID(0)
	; sched_group_barrier mask(0x00000100) size(2) SyncID(0)
	v_mfma_f64_16x16x4_f64 a[16:23], v[164:165], a[72:73], a[16:23]
	v_mfma_f64_16x16x4_f64 a[24:31], v[196:197], a[116:117], a[24:31]
	;; [unrolled: 1-line block ×3, first 2 shown]
	ds_read_b128 a[208:211], v3 offset:32768
	ds_read_b128 a[184:187], v3 offset:32784
	;; [unrolled: 1-line block ×3, first 2 shown]
	; sched_group_barrier mask(0x00000008) size(1) SyncID(0)
	; sched_group_barrier mask(0x00000100) size(2) SyncID(0)
	v_mfma_f64_16x16x4_f64 a[16:23], v[166:167], a[74:75], a[16:23]
	ds_read_b128 a[72:75], v9 offset:49168
	v_mfma_f64_16x16x4_f64 a[24:31], v[198:199], a[118:119], a[24:31]
	ds_read_b128 v[196:199], v8 offset:16384
	ds_read_b128 a[116:119], v9 offset:57344
	v_mfma_f64_16x16x4_f64 a[56:63], v[188:189], v[220:221], a[56:63]
	ds_read_b128 a[176:179], v3 offset:40976
	ds_read_b128 a[212:215], v3 offset:40960
	; sched_group_barrier mask(0x00000008) size(1) SyncID(0)
	; sched_group_barrier mask(0x00000100) size(2) SyncID(0)
	v_mfma_f64_16x16x4_f64 a[24:31], v[164:165], v[200:201], a[24:31]
	v_mfma_f64_16x16x4_f64 a[56:63], v[190:191], v[222:223], a[56:63]
	ds_read_b128 a[172:175], v3 offset:49168
	ds_read_b128 a[200:203], v3 offset:49152
	;; [unrolled: 1-line block ×3, first 2 shown]
	; sched_group_barrier mask(0x00000008) size(1) SyncID(0)
	; sched_group_barrier mask(0x00000100) size(2) SyncID(0)
	v_mfma_f64_16x16x4_f64 a[48:55], v[216:217], a[100:101], a[48:55]
	ds_read_b128 a[80:83], v3 offset:57360
	ds_read_b128 a[188:191], v3 offset:57344
	; sched_group_barrier mask(0x00000008) size(1) SyncID(0)
	; sched_group_barrier mask(0x00000100) size(2) SyncID(0)
	v_mfma_f64_16x16x4_f64 a[24:31], v[166:167], v[202:203], a[24:31]
	ds_read_b128 v[164:167], v8 offset:16400
	ds_read_b128 v[200:203], v9 offset:57360
	v_mfma_f64_16x16x4_f64 a[48:55], v[218:219], a[102:103], a[48:55]
	ds_read_b128 v[216:219], v8
	ds_read_b128 a[100:103], v9 offset:40960
	; sched_group_barrier mask(0x00000008) size(1) SyncID(0)
	v_mfma_f64_16x16x4_f64 a[48:55], v[188:189], v[236:237], a[48:55]
	v_mfma_f64_16x16x4_f64 a[48:55], v[190:191], v[238:239], a[48:55]
	ds_read_b128 v[188:191], v8 offset:16
	ds_read_b128 v[236:239], v9 offset:40976
	; sched_barrier mask(0x00000000)
	s_add_i32 s14, s14, -1
	s_nop 8
	v_accvgpr_read_b32 v25, a25
	v_accvgpr_read_b32 v24, a24
	;; [unrolled: 1-line block ×64, first 2 shown]
	v_add_u32_e32 v15, 0x200, v15
	v_add_u32_e32 v16, 0x200, v16
	;; [unrolled: 1-line block ×4, first 2 shown]
	s_cmp_lg_u32 s14, 0
	v_add_u32_e32 v20, 0x200, v20
	s_cbranch_scc1 .LBB1_11
; %bb.12:
	s_waitcnt lgkmcnt(14)
	v_mfma_f64_16x16x4_f64 a[56:63], a[192:193], a[208:209], a[56:63]
	s_lshl_b64 s[0:1], s[10:11], 3
	s_add_u32 s18, s8, s0
	s_waitcnt lgkmcnt(0)
	s_barrier
	s_addc_u32 s19, s9, s1
	v_bfe_u32 v2, v0, 4, 2
	v_and_or_b32 v4, v1, 16, v2
	v_lshlrev_b32_e32 v5, 3, v82
	v_lshl_or_b32 v21, v4, 8, v5
	v_lshlrev_b32_e32 v0, 3, v0
	v_add_u32_e32 v12, 0x800, v21
	v_and_b32_e32 v0, 24, v0
	v_or_b32_e32 v18, s13, v0
	v_lshl_or_b32 v19, s12, 6, v1
	v_cmp_gt_i32_e32 vcc, s17, v18
	v_cmp_gt_i32_e64 s[6:7], s16, v19
	s_and_b64 s[2:3], s[6:7], vcc
	v_lshl_or_b32 v0, v1, 5, v0
	v_mad_u64_u32 v[16:17], s[0:1], v19, s21, v[18:19]
	v_ashrrev_i32_e32 v17, 31, v16
	v_lshlrev_b32_e32 v20, 3, v0
	v_mfma_f64_16x16x4_f64 a[48:55], a[192:193], a[212:213], a[48:55]
	v_mfma_f64_16x16x4_f64 a[32:39], a[192:193], a[200:201], a[32:39]
	;; [unrolled: 1-line block ×127, first 2 shown]
	s_nop 11
	v_accvgpr_read_b32 v9, a63
	v_accvgpr_read_b32 v8, a62
	;; [unrolled: 1-line block ×7, first 2 shown]
	ds_write2_b64 v12, v[8:9], v[10:11] offset0:128 offset1:144
	v_accvgpr_read_b32 v9, a53
	v_accvgpr_read_b32 v8, a52
	ds_write2_b64 v12, v[6:7], v[8:9] offset1:16
	v_accvgpr_read_b32 v4, a58
	v_accvgpr_read_b32 v7, a51
	;; [unrolled: 1-line block ×3, first 2 shown]
	ds_write2_b64 v21, v[4:5], v[6:7] offset0:128 offset1:144
	v_accvgpr_read_b32 v3, a57
	v_accvgpr_read_b32 v2, a56
	;; [unrolled: 1-line block ×4, first 2 shown]
	ds_write2_b64 v21, v[2:3], v[4:5] offset1:16
	s_waitcnt lgkmcnt(0)
	s_barrier
	s_and_saveexec_b64 s[0:1], s[2:3]
	s_cbranch_execz .LBB1_14
; %bb.13:
	ds_read_b128 v[2:5], v20
	v_lshl_add_u64 v[0:1], v[16:17], 3, s[18:19]
	s_waitcnt lgkmcnt(0)
	global_atomic_add_f64 v[0:1], v[2:3], off
	global_atomic_add_f64 v[0:1], v[4:5], off offset:8
.LBB1_14:
	s_or_b64 exec, exec, s[0:1]
	v_or_b32_e32 v0, 2, v18
	v_cmp_gt_i32_e64 s[0:1], s17, v0
	s_and_b64 s[4:5], s[6:7], s[0:1]
	s_and_saveexec_b64 s[2:3], s[4:5]
	s_cbranch_execz .LBB1_16
; %bb.15:
	ds_read_b128 v[2:5], v20 offset:16
	v_lshl_add_u64 v[0:1], v[16:17], 3, s[18:19]
	s_waitcnt lgkmcnt(0)
	global_atomic_add_f64 v[0:1], v[2:3], off offset:16
	global_atomic_add_f64 v[0:1], v[4:5], off offset:24
.LBB1_16:
	s_or_b64 exec, exec, s[2:3]
	v_or_b32_e32 v0, 4, v18
	v_cmp_gt_i32_e64 s[2:3], s17, v0
	s_and_b64 s[8:9], s[6:7], s[2:3]
	s_and_saveexec_b64 s[4:5], s[8:9]
	s_cbranch_execz .LBB1_18
; %bb.17:
	ds_read_b128 v[2:5], v20 offset:32
	v_lshl_add_u64 v[0:1], v[16:17], 3, s[18:19]
	s_waitcnt lgkmcnt(0)
	global_atomic_add_f64 v[0:1], v[2:3], off offset:32
	global_atomic_add_f64 v[0:1], v[4:5], off offset:40
.LBB1_18:
	s_or_b64 exec, exec, s[4:5]
	v_or_b32_e32 v22, 6, v18
	v_accvgpr_read_b32 v0, a32
	v_accvgpr_read_b32 v8, a40
	v_cmp_gt_i32_e64 s[4:5], s17, v22
	v_accvgpr_read_b32 v1, a33
	v_accvgpr_read_b32 v2, a34
	;; [unrolled: 1-line block ×14, first 2 shown]
	s_and_b64 s[10:11], s[6:7], s[4:5]
	s_and_saveexec_b64 s[8:9], s[10:11]
	s_cbranch_execz .LBB1_20
; %bb.19:
	ds_read_b128 v[24:27], v20 offset:48
	v_lshl_add_u64 v[22:23], v[16:17], 3, s[18:19]
	s_waitcnt lgkmcnt(0)
	global_atomic_add_f64 v[22:23], v[24:25], off offset:48
	global_atomic_add_f64 v[22:23], v[26:27], off offset:56
.LBB1_20:
	s_or_b64 exec, exec, s[8:9]
	v_or_b32_e32 v22, 32, v18
	v_cmp_gt_i32_e64 s[8:9], s17, v22
	v_add_u32_e32 v23, 0x800, v21
	s_and_b64 s[12:13], s[6:7], s[8:9]
	s_waitcnt lgkmcnt(0)
	s_barrier
	ds_write2_b64 v23, v[6:7], v[14:15] offset0:128 offset1:144
	ds_write2_b64 v23, v[4:5], v[12:13] offset1:16
	ds_write2_b64 v21, v[2:3], v[10:11] offset0:128 offset1:144
	ds_write2_b64 v21, v[0:1], v[8:9] offset1:16
	s_waitcnt lgkmcnt(0)
	s_barrier
	s_and_saveexec_b64 s[10:11], s[12:13]
	s_cbranch_execz .LBB1_22
; %bb.21:
	ds_read_b128 v[2:5], v20
	v_lshl_add_u64 v[0:1], v[16:17], 3, s[18:19]
	s_waitcnt lgkmcnt(0)
	global_atomic_add_f64 v[0:1], v[2:3], off offset:256
	global_atomic_add_f64 v[0:1], v[4:5], off offset:264
.LBB1_22:
	s_or_b64 exec, exec, s[10:11]
	v_or_b32_e32 v0, 34, v18
	v_cmp_gt_i32_e64 s[10:11], s17, v0
	s_and_b64 s[14:15], s[6:7], s[10:11]
	s_and_saveexec_b64 s[12:13], s[14:15]
	s_cbranch_execz .LBB1_24
; %bb.23:
	ds_read_b128 v[2:5], v20 offset:16
	v_lshl_add_u64 v[0:1], v[16:17], 3, s[18:19]
	s_waitcnt lgkmcnt(0)
	global_atomic_add_f64 v[0:1], v[2:3], off offset:272
	global_atomic_add_f64 v[0:1], v[4:5], off offset:280
.LBB1_24:
	s_or_b64 exec, exec, s[12:13]
	v_or_b32_e32 v0, 36, v18
	v_cmp_gt_i32_e64 s[12:13], s17, v0
	s_and_b64 s[22:23], s[6:7], s[12:13]
	s_and_saveexec_b64 s[14:15], s[22:23]
	s_cbranch_execz .LBB1_26
; %bb.25:
	ds_read_b128 v[2:5], v20 offset:32
	v_lshl_add_u64 v[0:1], v[16:17], 3, s[18:19]
	s_waitcnt lgkmcnt(0)
	global_atomic_add_f64 v[0:1], v[2:3], off offset:288
	global_atomic_add_f64 v[0:1], v[4:5], off offset:296
.LBB1_26:
	s_or_b64 exec, exec, s[14:15]
	v_or_b32_e32 v18, 38, v18
	v_accvgpr_read_b32 v0, a16
	v_accvgpr_read_b32 v8, a24
	v_cmp_gt_i32_e64 s[14:15], s17, v18
	v_accvgpr_read_b32 v1, a17
	v_accvgpr_read_b32 v2, a18
	;; [unrolled: 1-line block ×14, first 2 shown]
	s_and_b64 s[22:23], s[6:7], s[14:15]
	s_and_saveexec_b64 s[6:7], s[22:23]
	s_cbranch_execz .LBB1_28
; %bb.27:
	ds_read_b128 v[24:27], v20 offset:48
	v_lshl_add_u64 v[22:23], v[16:17], 3, s[18:19]
	s_waitcnt lgkmcnt(0)
	global_atomic_add_f64 v[22:23], v[24:25], off offset:304
	global_atomic_add_f64 v[22:23], v[26:27], off offset:312
.LBB1_28:
	s_or_b64 exec, exec, s[6:7]
	v_or_b32_e32 v17, 32, v19
	s_lshl_b32 s17, s21, 5
	v_add3_u32 v18, v16, s17, 32
	v_add_u32_e32 v19, 0x800, v21
	v_cmp_gt_i32_e64 s[6:7], s16, v17
	s_waitcnt lgkmcnt(0)
	s_barrier
	ds_write2_b64 v19, v[6:7], v[14:15] offset0:128 offset1:144
	ds_write2_b64 v19, v[4:5], v[12:13] offset1:16
	ds_write2_b64 v21, v[2:3], v[10:11] offset0:128 offset1:144
	ds_write2_b64 v21, v[0:1], v[8:9] offset1:16
	s_and_b64 s[20:21], s[6:7], s[8:9]
	v_ashrrev_i32_e32 v19, 31, v18
	s_waitcnt lgkmcnt(0)
	s_barrier
	s_and_saveexec_b64 s[8:9], s[20:21]
	s_cbranch_execnz .LBB1_39
; %bb.29:
	s_or_b64 exec, exec, s[8:9]
	s_and_b64 s[10:11], s[10:11], s[6:7]
	s_and_saveexec_b64 s[8:9], s[10:11]
	s_cbranch_execnz .LBB1_40
.LBB1_30:
	s_or_b64 exec, exec, s[8:9]
	s_and_b64 s[10:11], s[12:13], s[6:7]
	s_and_saveexec_b64 s[8:9], s[10:11]
	s_cbranch_execz .LBB1_32
.LBB1_31:
	ds_read_b128 v[2:5], v20 offset:32
	v_lshl_add_u64 v[0:1], v[18:19], 3, s[18:19]
	s_waitcnt lgkmcnt(0)
	global_atomic_add_f64 v[0:1], v[2:3], off offset:32
	global_atomic_add_f64 v[0:1], v[4:5], off offset:40
.LBB1_32:
	s_or_b64 exec, exec, s[8:9]
	v_accvgpr_read_b32 v0, a0
	v_accvgpr_read_b32 v8, a8
	;; [unrolled: 1-line block ×16, first 2 shown]
	s_and_b64 s[10:11], s[14:15], s[6:7]
	s_and_saveexec_b64 s[8:9], s[10:11]
	s_cbranch_execz .LBB1_34
; %bb.33:
	ds_read_b128 v[22:25], v20 offset:48
	v_lshl_add_u64 v[18:19], v[18:19], 3, s[18:19]
	s_waitcnt lgkmcnt(0)
	global_atomic_add_f64 v[18:19], v[22:23], off offset:48
	global_atomic_add_f64 v[18:19], v[24:25], off offset:56
.LBB1_34:
	s_or_b64 exec, exec, s[8:9]
	v_add_u32_e32 v16, s17, v16
	v_add_u32_e32 v17, 0x800, v21
	s_waitcnt lgkmcnt(0)
	s_barrier
	ds_write2_b64 v17, v[6:7], v[14:15] offset0:128 offset1:144
	ds_write2_b64 v17, v[4:5], v[12:13] offset1:16
	ds_write2_b64 v21, v[2:3], v[10:11] offset0:128 offset1:144
	ds_write2_b64 v21, v[0:1], v[8:9] offset1:16
	s_and_b64 s[10:11], vcc, s[6:7]
	v_ashrrev_i32_e32 v17, 31, v16
	s_waitcnt lgkmcnt(0)
	s_barrier
	s_and_saveexec_b64 s[8:9], s[10:11]
	s_cbranch_execnz .LBB1_41
; %bb.35:
	s_or_b64 exec, exec, s[8:9]
	s_and_b64 s[8:9], s[0:1], s[6:7]
	s_and_saveexec_b64 s[0:1], s[8:9]
	s_cbranch_execnz .LBB1_42
.LBB1_36:
	s_or_b64 exec, exec, s[0:1]
	s_and_b64 s[2:3], s[2:3], s[6:7]
	s_and_saveexec_b64 s[0:1], s[2:3]
	s_cbranch_execnz .LBB1_43
.LBB1_37:
	s_or_b64 exec, exec, s[0:1]
	s_and_b64 s[0:1], s[4:5], s[6:7]
	s_and_saveexec_b64 s[2:3], s[0:1]
	s_cbranch_execnz .LBB1_44
.LBB1_38:
	s_endpgm
.LBB1_39:
	ds_read_b128 v[2:5], v20
	v_lshl_add_u64 v[0:1], v[18:19], 3, s[18:19]
	s_waitcnt lgkmcnt(0)
	global_atomic_add_f64 v[0:1], v[2:3], off
	global_atomic_add_f64 v[0:1], v[4:5], off offset:8
	s_or_b64 exec, exec, s[8:9]
	s_and_b64 s[10:11], s[10:11], s[6:7]
	s_and_saveexec_b64 s[8:9], s[10:11]
	s_cbranch_execz .LBB1_30
.LBB1_40:
	ds_read_b128 v[2:5], v20 offset:16
	v_lshl_add_u64 v[0:1], v[18:19], 3, s[18:19]
	s_waitcnt lgkmcnt(0)
	global_atomic_add_f64 v[0:1], v[2:3], off offset:16
	global_atomic_add_f64 v[0:1], v[4:5], off offset:24
	s_or_b64 exec, exec, s[8:9]
	s_and_b64 s[10:11], s[12:13], s[6:7]
	s_and_saveexec_b64 s[8:9], s[10:11]
	s_cbranch_execnz .LBB1_31
	s_branch .LBB1_32
.LBB1_41:
	ds_read_b128 v[2:5], v20
	v_lshl_add_u64 v[0:1], v[16:17], 3, s[18:19]
	s_waitcnt lgkmcnt(0)
	global_atomic_add_f64 v[0:1], v[2:3], off
	global_atomic_add_f64 v[0:1], v[4:5], off offset:8
	s_or_b64 exec, exec, s[8:9]
	s_and_b64 s[8:9], s[0:1], s[6:7]
	s_and_saveexec_b64 s[0:1], s[8:9]
	s_cbranch_execz .LBB1_36
.LBB1_42:
	ds_read_b128 v[2:5], v20 offset:16
	v_lshl_add_u64 v[0:1], v[16:17], 3, s[18:19]
	s_waitcnt lgkmcnt(0)
	global_atomic_add_f64 v[0:1], v[2:3], off offset:16
	global_atomic_add_f64 v[0:1], v[4:5], off offset:24
	s_or_b64 exec, exec, s[0:1]
	s_and_b64 s[2:3], s[2:3], s[6:7]
	s_and_saveexec_b64 s[0:1], s[2:3]
	s_cbranch_execz .LBB1_37
.LBB1_43:
	ds_read_b128 v[2:5], v20 offset:32
	v_lshl_add_u64 v[0:1], v[16:17], 3, s[18:19]
	s_waitcnt lgkmcnt(0)
	global_atomic_add_f64 v[0:1], v[2:3], off offset:32
	global_atomic_add_f64 v[0:1], v[4:5], off offset:40
	s_or_b64 exec, exec, s[0:1]
	s_and_b64 s[0:1], s[4:5], s[6:7]
	s_and_saveexec_b64 s[2:3], s[0:1]
	s_cbranch_execz .LBB1_38
.LBB1_44:
	ds_read_b128 v[2:5], v20 offset:48
	v_lshl_add_u64 v[0:1], v[16:17], 3, s[18:19]
	s_waitcnt lgkmcnt(0)
	global_atomic_add_f64 v[0:1], v[2:3], off offset:48
	global_atomic_add_f64 v[0:1], v[4:5], off offset:56
	s_endpgm
	.section	.rodata,"a",@progbits
	.p2align	6, 0x0
	.amdhsa_kernel _ZN2ck27kernel_gemm_xdl_cshuffle_v3INS_28GridwiseGemm_xdl_cshuffle_v3INS_13tensor_layout4gemm8RowMajorENS3_11ColumnMajorES4_dddddNS_16tensor_operation12element_wise11PassThroughES8_S8_LNS6_6device18GemmSpecializationE0ELi128ELi64ELi64ELi64ELi4ELi4ELi16ELi16ELi2ELi4ENS_8SequenceIJLi4ELi32ELi1EEEENSB_IJLi1ELi0ELi2EEEESD_Li2ELi2ELi2ELb0ELi0ESC_SD_SD_Li2ELi2ELi2ELb0ELi0ELi1ELi2ENSB_IJLi1ELi32ELi1ELi4EEEELi2ELNS_26BlockGemmPipelineSchedulerE0ELNS_24BlockGemmPipelineVersionE2EddLb0ELb0ELb0ELi0ELb0EEELb1ELNS_25InMemoryDataOperationEnumE1ELi2ELNS_10TailNumberE10EEEvNT_8ArgumentE
		.amdhsa_group_segment_fixed_size 65536
		.amdhsa_private_segment_fixed_size 0
		.amdhsa_kernarg_size 112
		.amdhsa_user_sgpr_count 2
		.amdhsa_user_sgpr_dispatch_ptr 0
		.amdhsa_user_sgpr_queue_ptr 0
		.amdhsa_user_sgpr_kernarg_segment_ptr 1
		.amdhsa_user_sgpr_dispatch_id 0
		.amdhsa_user_sgpr_kernarg_preload_length 0
		.amdhsa_user_sgpr_kernarg_preload_offset 0
		.amdhsa_user_sgpr_private_segment_size 0
		.amdhsa_uses_dynamic_stack 0
		.amdhsa_enable_private_segment 0
		.amdhsa_system_sgpr_workgroup_id_x 1
		.amdhsa_system_sgpr_workgroup_id_y 0
		.amdhsa_system_sgpr_workgroup_id_z 1
		.amdhsa_system_sgpr_workgroup_info 0
		.amdhsa_system_vgpr_workitem_id 0
		.amdhsa_next_free_vgpr 480
		.amdhsa_next_free_sgpr 96
		.amdhsa_accum_offset 256
		.amdhsa_reserve_vcc 1
		.amdhsa_float_round_mode_32 0
		.amdhsa_float_round_mode_16_64 0
		.amdhsa_float_denorm_mode_32 3
		.amdhsa_float_denorm_mode_16_64 3
		.amdhsa_dx10_clamp 1
		.amdhsa_ieee_mode 1
		.amdhsa_fp16_overflow 0
		.amdhsa_tg_split 0
		.amdhsa_exception_fp_ieee_invalid_op 0
		.amdhsa_exception_fp_denorm_src 0
		.amdhsa_exception_fp_ieee_div_zero 0
		.amdhsa_exception_fp_ieee_overflow 0
		.amdhsa_exception_fp_ieee_underflow 0
		.amdhsa_exception_fp_ieee_inexact 0
		.amdhsa_exception_int_div_zero 0
	.end_amdhsa_kernel
	.section	.text._ZN2ck27kernel_gemm_xdl_cshuffle_v3INS_28GridwiseGemm_xdl_cshuffle_v3INS_13tensor_layout4gemm8RowMajorENS3_11ColumnMajorES4_dddddNS_16tensor_operation12element_wise11PassThroughES8_S8_LNS6_6device18GemmSpecializationE0ELi128ELi64ELi64ELi64ELi4ELi4ELi16ELi16ELi2ELi4ENS_8SequenceIJLi4ELi32ELi1EEEENSB_IJLi1ELi0ELi2EEEESD_Li2ELi2ELi2ELb0ELi0ESC_SD_SD_Li2ELi2ELi2ELb0ELi0ELi1ELi2ENSB_IJLi1ELi32ELi1ELi4EEEELi2ELNS_26BlockGemmPipelineSchedulerE0ELNS_24BlockGemmPipelineVersionE2EddLb0ELb0ELb0ELi0ELb0EEELb1ELNS_25InMemoryDataOperationEnumE1ELi2ELNS_10TailNumberE10EEEvNT_8ArgumentE,"axG",@progbits,_ZN2ck27kernel_gemm_xdl_cshuffle_v3INS_28GridwiseGemm_xdl_cshuffle_v3INS_13tensor_layout4gemm8RowMajorENS3_11ColumnMajorES4_dddddNS_16tensor_operation12element_wise11PassThroughES8_S8_LNS6_6device18GemmSpecializationE0ELi128ELi64ELi64ELi64ELi4ELi4ELi16ELi16ELi2ELi4ENS_8SequenceIJLi4ELi32ELi1EEEENSB_IJLi1ELi0ELi2EEEESD_Li2ELi2ELi2ELb0ELi0ESC_SD_SD_Li2ELi2ELi2ELb0ELi0ELi1ELi2ENSB_IJLi1ELi32ELi1ELi4EEEELi2ELNS_26BlockGemmPipelineSchedulerE0ELNS_24BlockGemmPipelineVersionE2EddLb0ELb0ELb0ELi0ELb0EEELb1ELNS_25InMemoryDataOperationEnumE1ELi2ELNS_10TailNumberE10EEEvNT_8ArgumentE,comdat
.Lfunc_end1:
	.size	_ZN2ck27kernel_gemm_xdl_cshuffle_v3INS_28GridwiseGemm_xdl_cshuffle_v3INS_13tensor_layout4gemm8RowMajorENS3_11ColumnMajorES4_dddddNS_16tensor_operation12element_wise11PassThroughES8_S8_LNS6_6device18GemmSpecializationE0ELi128ELi64ELi64ELi64ELi4ELi4ELi16ELi16ELi2ELi4ENS_8SequenceIJLi4ELi32ELi1EEEENSB_IJLi1ELi0ELi2EEEESD_Li2ELi2ELi2ELb0ELi0ESC_SD_SD_Li2ELi2ELi2ELb0ELi0ELi1ELi2ENSB_IJLi1ELi32ELi1ELi4EEEELi2ELNS_26BlockGemmPipelineSchedulerE0ELNS_24BlockGemmPipelineVersionE2EddLb0ELb0ELb0ELi0ELb0EEELb1ELNS_25InMemoryDataOperationEnumE1ELi2ELNS_10TailNumberE10EEEvNT_8ArgumentE, .Lfunc_end1-_ZN2ck27kernel_gemm_xdl_cshuffle_v3INS_28GridwiseGemm_xdl_cshuffle_v3INS_13tensor_layout4gemm8RowMajorENS3_11ColumnMajorES4_dddddNS_16tensor_operation12element_wise11PassThroughES8_S8_LNS6_6device18GemmSpecializationE0ELi128ELi64ELi64ELi64ELi4ELi4ELi16ELi16ELi2ELi4ENS_8SequenceIJLi4ELi32ELi1EEEENSB_IJLi1ELi0ELi2EEEESD_Li2ELi2ELi2ELb0ELi0ESC_SD_SD_Li2ELi2ELi2ELb0ELi0ELi1ELi2ENSB_IJLi1ELi32ELi1ELi4EEEELi2ELNS_26BlockGemmPipelineSchedulerE0ELNS_24BlockGemmPipelineVersionE2EddLb0ELb0ELb0ELi0ELb0EEELb1ELNS_25InMemoryDataOperationEnumE1ELi2ELNS_10TailNumberE10EEEvNT_8ArgumentE
                                        ; -- End function
	.set _ZN2ck27kernel_gemm_xdl_cshuffle_v3INS_28GridwiseGemm_xdl_cshuffle_v3INS_13tensor_layout4gemm8RowMajorENS3_11ColumnMajorES4_dddddNS_16tensor_operation12element_wise11PassThroughES8_S8_LNS6_6device18GemmSpecializationE0ELi128ELi64ELi64ELi64ELi4ELi4ELi16ELi16ELi2ELi4ENS_8SequenceIJLi4ELi32ELi1EEEENSB_IJLi1ELi0ELi2EEEESD_Li2ELi2ELi2ELb0ELi0ESC_SD_SD_Li2ELi2ELi2ELb0ELi0ELi1ELi2ENSB_IJLi1ELi32ELi1ELi4EEEELi2ELNS_26BlockGemmPipelineSchedulerE0ELNS_24BlockGemmPipelineVersionE2EddLb0ELb0ELb0ELi0ELb0EEELb1ELNS_25InMemoryDataOperationEnumE1ELi2ELNS_10TailNumberE10EEEvNT_8ArgumentE.num_vgpr, 256
	.set _ZN2ck27kernel_gemm_xdl_cshuffle_v3INS_28GridwiseGemm_xdl_cshuffle_v3INS_13tensor_layout4gemm8RowMajorENS3_11ColumnMajorES4_dddddNS_16tensor_operation12element_wise11PassThroughES8_S8_LNS6_6device18GemmSpecializationE0ELi128ELi64ELi64ELi64ELi4ELi4ELi16ELi16ELi2ELi4ENS_8SequenceIJLi4ELi32ELi1EEEENSB_IJLi1ELi0ELi2EEEESD_Li2ELi2ELi2ELb0ELi0ESC_SD_SD_Li2ELi2ELi2ELb0ELi0ELi1ELi2ENSB_IJLi1ELi32ELi1ELi4EEEELi2ELNS_26BlockGemmPipelineSchedulerE0ELNS_24BlockGemmPipelineVersionE2EddLb0ELb0ELb0ELi0ELb0EEELb1ELNS_25InMemoryDataOperationEnumE1ELi2ELNS_10TailNumberE10EEEvNT_8ArgumentE.num_agpr, 224
	.set _ZN2ck27kernel_gemm_xdl_cshuffle_v3INS_28GridwiseGemm_xdl_cshuffle_v3INS_13tensor_layout4gemm8RowMajorENS3_11ColumnMajorES4_dddddNS_16tensor_operation12element_wise11PassThroughES8_S8_LNS6_6device18GemmSpecializationE0ELi128ELi64ELi64ELi64ELi4ELi4ELi16ELi16ELi2ELi4ENS_8SequenceIJLi4ELi32ELi1EEEENSB_IJLi1ELi0ELi2EEEESD_Li2ELi2ELi2ELb0ELi0ESC_SD_SD_Li2ELi2ELi2ELb0ELi0ELi1ELi2ENSB_IJLi1ELi32ELi1ELi4EEEELi2ELNS_26BlockGemmPipelineSchedulerE0ELNS_24BlockGemmPipelineVersionE2EddLb0ELb0ELb0ELi0ELb0EEELb1ELNS_25InMemoryDataOperationEnumE1ELi2ELNS_10TailNumberE10EEEvNT_8ArgumentE.numbered_sgpr, 28
	.set _ZN2ck27kernel_gemm_xdl_cshuffle_v3INS_28GridwiseGemm_xdl_cshuffle_v3INS_13tensor_layout4gemm8RowMajorENS3_11ColumnMajorES4_dddddNS_16tensor_operation12element_wise11PassThroughES8_S8_LNS6_6device18GemmSpecializationE0ELi128ELi64ELi64ELi64ELi4ELi4ELi16ELi16ELi2ELi4ENS_8SequenceIJLi4ELi32ELi1EEEENSB_IJLi1ELi0ELi2EEEESD_Li2ELi2ELi2ELb0ELi0ESC_SD_SD_Li2ELi2ELi2ELb0ELi0ELi1ELi2ENSB_IJLi1ELi32ELi1ELi4EEEELi2ELNS_26BlockGemmPipelineSchedulerE0ELNS_24BlockGemmPipelineVersionE2EddLb0ELb0ELb0ELi0ELb0EEELb1ELNS_25InMemoryDataOperationEnumE1ELi2ELNS_10TailNumberE10EEEvNT_8ArgumentE.num_named_barrier, 0
	.set _ZN2ck27kernel_gemm_xdl_cshuffle_v3INS_28GridwiseGemm_xdl_cshuffle_v3INS_13tensor_layout4gemm8RowMajorENS3_11ColumnMajorES4_dddddNS_16tensor_operation12element_wise11PassThroughES8_S8_LNS6_6device18GemmSpecializationE0ELi128ELi64ELi64ELi64ELi4ELi4ELi16ELi16ELi2ELi4ENS_8SequenceIJLi4ELi32ELi1EEEENSB_IJLi1ELi0ELi2EEEESD_Li2ELi2ELi2ELb0ELi0ESC_SD_SD_Li2ELi2ELi2ELb0ELi0ELi1ELi2ENSB_IJLi1ELi32ELi1ELi4EEEELi2ELNS_26BlockGemmPipelineSchedulerE0ELNS_24BlockGemmPipelineVersionE2EddLb0ELb0ELb0ELi0ELb0EEELb1ELNS_25InMemoryDataOperationEnumE1ELi2ELNS_10TailNumberE10EEEvNT_8ArgumentE.private_seg_size, 0
	.set _ZN2ck27kernel_gemm_xdl_cshuffle_v3INS_28GridwiseGemm_xdl_cshuffle_v3INS_13tensor_layout4gemm8RowMajorENS3_11ColumnMajorES4_dddddNS_16tensor_operation12element_wise11PassThroughES8_S8_LNS6_6device18GemmSpecializationE0ELi128ELi64ELi64ELi64ELi4ELi4ELi16ELi16ELi2ELi4ENS_8SequenceIJLi4ELi32ELi1EEEENSB_IJLi1ELi0ELi2EEEESD_Li2ELi2ELi2ELb0ELi0ESC_SD_SD_Li2ELi2ELi2ELb0ELi0ELi1ELi2ENSB_IJLi1ELi32ELi1ELi4EEEELi2ELNS_26BlockGemmPipelineSchedulerE0ELNS_24BlockGemmPipelineVersionE2EddLb0ELb0ELb0ELi0ELb0EEELb1ELNS_25InMemoryDataOperationEnumE1ELi2ELNS_10TailNumberE10EEEvNT_8ArgumentE.uses_vcc, 1
	.set _ZN2ck27kernel_gemm_xdl_cshuffle_v3INS_28GridwiseGemm_xdl_cshuffle_v3INS_13tensor_layout4gemm8RowMajorENS3_11ColumnMajorES4_dddddNS_16tensor_operation12element_wise11PassThroughES8_S8_LNS6_6device18GemmSpecializationE0ELi128ELi64ELi64ELi64ELi4ELi4ELi16ELi16ELi2ELi4ENS_8SequenceIJLi4ELi32ELi1EEEENSB_IJLi1ELi0ELi2EEEESD_Li2ELi2ELi2ELb0ELi0ESC_SD_SD_Li2ELi2ELi2ELb0ELi0ELi1ELi2ENSB_IJLi1ELi32ELi1ELi4EEEELi2ELNS_26BlockGemmPipelineSchedulerE0ELNS_24BlockGemmPipelineVersionE2EddLb0ELb0ELb0ELi0ELb0EEELb1ELNS_25InMemoryDataOperationEnumE1ELi2ELNS_10TailNumberE10EEEvNT_8ArgumentE.uses_flat_scratch, 0
	.set _ZN2ck27kernel_gemm_xdl_cshuffle_v3INS_28GridwiseGemm_xdl_cshuffle_v3INS_13tensor_layout4gemm8RowMajorENS3_11ColumnMajorES4_dddddNS_16tensor_operation12element_wise11PassThroughES8_S8_LNS6_6device18GemmSpecializationE0ELi128ELi64ELi64ELi64ELi4ELi4ELi16ELi16ELi2ELi4ENS_8SequenceIJLi4ELi32ELi1EEEENSB_IJLi1ELi0ELi2EEEESD_Li2ELi2ELi2ELb0ELi0ESC_SD_SD_Li2ELi2ELi2ELb0ELi0ELi1ELi2ENSB_IJLi1ELi32ELi1ELi4EEEELi2ELNS_26BlockGemmPipelineSchedulerE0ELNS_24BlockGemmPipelineVersionE2EddLb0ELb0ELb0ELi0ELb0EEELb1ELNS_25InMemoryDataOperationEnumE1ELi2ELNS_10TailNumberE10EEEvNT_8ArgumentE.has_dyn_sized_stack, 0
	.set _ZN2ck27kernel_gemm_xdl_cshuffle_v3INS_28GridwiseGemm_xdl_cshuffle_v3INS_13tensor_layout4gemm8RowMajorENS3_11ColumnMajorES4_dddddNS_16tensor_operation12element_wise11PassThroughES8_S8_LNS6_6device18GemmSpecializationE0ELi128ELi64ELi64ELi64ELi4ELi4ELi16ELi16ELi2ELi4ENS_8SequenceIJLi4ELi32ELi1EEEENSB_IJLi1ELi0ELi2EEEESD_Li2ELi2ELi2ELb0ELi0ESC_SD_SD_Li2ELi2ELi2ELb0ELi0ELi1ELi2ENSB_IJLi1ELi32ELi1ELi4EEEELi2ELNS_26BlockGemmPipelineSchedulerE0ELNS_24BlockGemmPipelineVersionE2EddLb0ELb0ELb0ELi0ELb0EEELb1ELNS_25InMemoryDataOperationEnumE1ELi2ELNS_10TailNumberE10EEEvNT_8ArgumentE.has_recursion, 0
	.set _ZN2ck27kernel_gemm_xdl_cshuffle_v3INS_28GridwiseGemm_xdl_cshuffle_v3INS_13tensor_layout4gemm8RowMajorENS3_11ColumnMajorES4_dddddNS_16tensor_operation12element_wise11PassThroughES8_S8_LNS6_6device18GemmSpecializationE0ELi128ELi64ELi64ELi64ELi4ELi4ELi16ELi16ELi2ELi4ENS_8SequenceIJLi4ELi32ELi1EEEENSB_IJLi1ELi0ELi2EEEESD_Li2ELi2ELi2ELb0ELi0ESC_SD_SD_Li2ELi2ELi2ELb0ELi0ELi1ELi2ENSB_IJLi1ELi32ELi1ELi4EEEELi2ELNS_26BlockGemmPipelineSchedulerE0ELNS_24BlockGemmPipelineVersionE2EddLb0ELb0ELb0ELi0ELb0EEELb1ELNS_25InMemoryDataOperationEnumE1ELi2ELNS_10TailNumberE10EEEvNT_8ArgumentE.has_indirect_call, 0
	.section	.AMDGPU.csdata,"",@progbits
; Kernel info:
; codeLenInByte = 9112
; TotalNumSgprs: 34
; NumVgprs: 256
; NumAgprs: 224
; TotalNumVgprs: 480
; ScratchSize: 0
; MemoryBound: 0
; FloatMode: 240
; IeeeMode: 1
; LDSByteSize: 65536 bytes/workgroup (compile time only)
; SGPRBlocks: 12
; VGPRBlocks: 59
; NumSGPRsForWavesPerEU: 102
; NumVGPRsForWavesPerEU: 480
; AccumOffset: 256
; Occupancy: 1
; WaveLimiterHint : 0
; COMPUTE_PGM_RSRC2:SCRATCH_EN: 0
; COMPUTE_PGM_RSRC2:USER_SGPR: 2
; COMPUTE_PGM_RSRC2:TRAP_HANDLER: 0
; COMPUTE_PGM_RSRC2:TGID_X_EN: 1
; COMPUTE_PGM_RSRC2:TGID_Y_EN: 0
; COMPUTE_PGM_RSRC2:TGID_Z_EN: 1
; COMPUTE_PGM_RSRC2:TIDIG_COMP_CNT: 0
; COMPUTE_PGM_RSRC3_GFX90A:ACCUM_OFFSET: 63
; COMPUTE_PGM_RSRC3_GFX90A:TG_SPLIT: 0
	.section	.text._ZN2ck27kernel_gemm_xdl_cshuffle_v3INS_28GridwiseGemm_xdl_cshuffle_v3INS_13tensor_layout4gemm8RowMajorENS3_11ColumnMajorES4_dddddNS_16tensor_operation12element_wise11PassThroughES8_S8_LNS6_6device18GemmSpecializationE0ELi128ELi64ELi64ELi64ELi4ELi4ELi16ELi16ELi2ELi4ENS_8SequenceIJLi4ELi32ELi1EEEENSB_IJLi1ELi0ELi2EEEESD_Li2ELi2ELi2ELb0ELi0ESC_SD_SD_Li2ELi2ELi2ELb0ELi0ELi1ELi2ENSB_IJLi1ELi32ELi1ELi4EEEELi2ELNS_26BlockGemmPipelineSchedulerE0ELNS_24BlockGemmPipelineVersionE2EddLb0ELb0ELb0ELi0ELb0EEELb1ELNS_25InMemoryDataOperationEnumE0ELi2ELNS_10TailNumberE10EEEvNT_8ArgumentE,"axG",@progbits,_ZN2ck27kernel_gemm_xdl_cshuffle_v3INS_28GridwiseGemm_xdl_cshuffle_v3INS_13tensor_layout4gemm8RowMajorENS3_11ColumnMajorES4_dddddNS_16tensor_operation12element_wise11PassThroughES8_S8_LNS6_6device18GemmSpecializationE0ELi128ELi64ELi64ELi64ELi4ELi4ELi16ELi16ELi2ELi4ENS_8SequenceIJLi4ELi32ELi1EEEENSB_IJLi1ELi0ELi2EEEESD_Li2ELi2ELi2ELb0ELi0ESC_SD_SD_Li2ELi2ELi2ELb0ELi0ELi1ELi2ENSB_IJLi1ELi32ELi1ELi4EEEELi2ELNS_26BlockGemmPipelineSchedulerE0ELNS_24BlockGemmPipelineVersionE2EddLb0ELb0ELb0ELi0ELb0EEELb1ELNS_25InMemoryDataOperationEnumE0ELi2ELNS_10TailNumberE10EEEvNT_8ArgumentE,comdat
	.protected	_ZN2ck27kernel_gemm_xdl_cshuffle_v3INS_28GridwiseGemm_xdl_cshuffle_v3INS_13tensor_layout4gemm8RowMajorENS3_11ColumnMajorES4_dddddNS_16tensor_operation12element_wise11PassThroughES8_S8_LNS6_6device18GemmSpecializationE0ELi128ELi64ELi64ELi64ELi4ELi4ELi16ELi16ELi2ELi4ENS_8SequenceIJLi4ELi32ELi1EEEENSB_IJLi1ELi0ELi2EEEESD_Li2ELi2ELi2ELb0ELi0ESC_SD_SD_Li2ELi2ELi2ELb0ELi0ELi1ELi2ENSB_IJLi1ELi32ELi1ELi4EEEELi2ELNS_26BlockGemmPipelineSchedulerE0ELNS_24BlockGemmPipelineVersionE2EddLb0ELb0ELb0ELi0ELb0EEELb1ELNS_25InMemoryDataOperationEnumE0ELi2ELNS_10TailNumberE10EEEvNT_8ArgumentE ; -- Begin function _ZN2ck27kernel_gemm_xdl_cshuffle_v3INS_28GridwiseGemm_xdl_cshuffle_v3INS_13tensor_layout4gemm8RowMajorENS3_11ColumnMajorES4_dddddNS_16tensor_operation12element_wise11PassThroughES8_S8_LNS6_6device18GemmSpecializationE0ELi128ELi64ELi64ELi64ELi4ELi4ELi16ELi16ELi2ELi4ENS_8SequenceIJLi4ELi32ELi1EEEENSB_IJLi1ELi0ELi2EEEESD_Li2ELi2ELi2ELb0ELi0ESC_SD_SD_Li2ELi2ELi2ELb0ELi0ELi1ELi2ENSB_IJLi1ELi32ELi1ELi4EEEELi2ELNS_26BlockGemmPipelineSchedulerE0ELNS_24BlockGemmPipelineVersionE2EddLb0ELb0ELb0ELi0ELb0EEELb1ELNS_25InMemoryDataOperationEnumE0ELi2ELNS_10TailNumberE10EEEvNT_8ArgumentE
	.globl	_ZN2ck27kernel_gemm_xdl_cshuffle_v3INS_28GridwiseGemm_xdl_cshuffle_v3INS_13tensor_layout4gemm8RowMajorENS3_11ColumnMajorES4_dddddNS_16tensor_operation12element_wise11PassThroughES8_S8_LNS6_6device18GemmSpecializationE0ELi128ELi64ELi64ELi64ELi4ELi4ELi16ELi16ELi2ELi4ENS_8SequenceIJLi4ELi32ELi1EEEENSB_IJLi1ELi0ELi2EEEESD_Li2ELi2ELi2ELb0ELi0ESC_SD_SD_Li2ELi2ELi2ELb0ELi0ELi1ELi2ENSB_IJLi1ELi32ELi1ELi4EEEELi2ELNS_26BlockGemmPipelineSchedulerE0ELNS_24BlockGemmPipelineVersionE2EddLb0ELb0ELb0ELi0ELb0EEELb1ELNS_25InMemoryDataOperationEnumE0ELi2ELNS_10TailNumberE10EEEvNT_8ArgumentE
	.p2align	8
	.type	_ZN2ck27kernel_gemm_xdl_cshuffle_v3INS_28GridwiseGemm_xdl_cshuffle_v3INS_13tensor_layout4gemm8RowMajorENS3_11ColumnMajorES4_dddddNS_16tensor_operation12element_wise11PassThroughES8_S8_LNS6_6device18GemmSpecializationE0ELi128ELi64ELi64ELi64ELi4ELi4ELi16ELi16ELi2ELi4ENS_8SequenceIJLi4ELi32ELi1EEEENSB_IJLi1ELi0ELi2EEEESD_Li2ELi2ELi2ELb0ELi0ESC_SD_SD_Li2ELi2ELi2ELb0ELi0ELi1ELi2ENSB_IJLi1ELi32ELi1ELi4EEEELi2ELNS_26BlockGemmPipelineSchedulerE0ELNS_24BlockGemmPipelineVersionE2EddLb0ELb0ELb0ELi0ELb0EEELb1ELNS_25InMemoryDataOperationEnumE0ELi2ELNS_10TailNumberE10EEEvNT_8ArgumentE,@function
_ZN2ck27kernel_gemm_xdl_cshuffle_v3INS_28GridwiseGemm_xdl_cshuffle_v3INS_13tensor_layout4gemm8RowMajorENS3_11ColumnMajorES4_dddddNS_16tensor_operation12element_wise11PassThroughES8_S8_LNS6_6device18GemmSpecializationE0ELi128ELi64ELi64ELi64ELi4ELi4ELi16ELi16ELi2ELi4ENS_8SequenceIJLi4ELi32ELi1EEEENSB_IJLi1ELi0ELi2EEEESD_Li2ELi2ELi2ELb0ELi0ESC_SD_SD_Li2ELi2ELi2ELb0ELi0ELi1ELi2ENSB_IJLi1ELi32ELi1ELi4EEEELi2ELNS_26BlockGemmPipelineSchedulerE0ELNS_24BlockGemmPipelineVersionE2EddLb0ELb0ELb0ELi0ELb0EEELb1ELNS_25InMemoryDataOperationEnumE0ELi2ELNS_10TailNumberE10EEEvNT_8ArgumentE: ; @_ZN2ck27kernel_gemm_xdl_cshuffle_v3INS_28GridwiseGemm_xdl_cshuffle_v3INS_13tensor_layout4gemm8RowMajorENS3_11ColumnMajorES4_dddddNS_16tensor_operation12element_wise11PassThroughES8_S8_LNS6_6device18GemmSpecializationE0ELi128ELi64ELi64ELi64ELi4ELi4ELi16ELi16ELi2ELi4ENS_8SequenceIJLi4ELi32ELi1EEEENSB_IJLi1ELi0ELi2EEEESD_Li2ELi2ELi2ELb0ELi0ESC_SD_SD_Li2ELi2ELi2ELb0ELi0ELi1ELi2ENSB_IJLi1ELi32ELi1ELi4EEEELi2ELNS_26BlockGemmPipelineSchedulerE0ELNS_24BlockGemmPipelineVersionE2EddLb0ELb0ELb0ELi0ELb0EEELb1ELNS_25InMemoryDataOperationEnumE0ELi2ELNS_10TailNumberE10EEEvNT_8ArgumentE
; %bb.0:
	s_load_dwordx8 s[16:23], s[0:1], 0x10
	s_load_dwordx2 s[8:9], s[0:1], 0x60
	s_load_dword s12, s[0:1], 0x68
	s_load_dword s15, s[0:1], 0x3c
	s_load_dwordx4 s[4:7], s[0:1], 0x50
	s_waitcnt lgkmcnt(0)
	s_cmp_gt_i32 s22, 1
	s_cselect_b64 s[10:11], -1, 0
	s_bitcmp1_b32 s12, 0
	s_cselect_b64 s[12:13], -1, 0
	s_and_b64 s[10:11], s[10:11], s[12:13]
	s_andn2_b64 vcc, exec, s[10:11]
	s_mov_b64 s[10:11], 0
	s_cbranch_vccnz .LBB2_2
; %bb.1:
	s_mul_i32 s10, s16, s3
	s_mul_i32 s10, s10, s17
	s_ashr_i32 s11, s10, 31
.LBB2_2:
	s_load_dword s14, s[0:1], 0x34
	s_add_i32 s12, s16, -1
	s_cmp_lt_u32 s12, 64
	s_mov_b32 s13, 0
	s_cbranch_scc1 .LBB2_10
; %bb.3:
	s_add_i32 s0, s17, -1
	s_cmp_lt_u32 s0, 64
	s_mov_b32 s0, 0
	s_cbranch_scc1 .LBB2_9
; %bb.4:
	s_add_i32 s0, s16, 63
	s_ashr_i32 s1, s0, 31
	s_lshr_b32 s1, s1, 26
	s_add_i32 s0, s0, s1
	s_ashr_i32 s23, s0, 6
	s_add_i32 s0, s17, 63
	s_ashr_i32 s1, s0, 31
	s_lshr_b32 s1, s1, 26
	s_add_i32 s0, s0, s1
	s_ashr_i32 s13, s0, 6
	s_mul_i32 s0, s13, s23
	s_add_i32 s1, s0, 7
	s_ashr_i32 s24, s1, 31
	s_lshr_b32 s24, s24, 29
	s_add_i32 s1, s1, s24
	s_ashr_i32 s24, s1, 3
	s_and_b32 s1, s1, -8
	s_sub_i32 s25, s0, s1
	s_ashr_i32 s0, s2, 31
	s_lshr_b32 s0, s0, 29
	s_add_i32 s27, s2, s0
	s_and_b32 s0, s27, -8
	s_add_i32 s25, s25, 8
	s_sub_i32 s26, s2, s0
	s_cmp_gt_i32 s26, s25
	s_cbranch_scc1 .LBB2_6
; %bb.5:
	s_mul_i32 s2, s24, s26
	s_ashr_i32 s0, s27, 3
	s_cbranch_execz .LBB2_7
	s_branch .LBB2_8
.LBB2_6:
                                        ; implicit-def: $sgpr2
	s_ashr_i32 s0, s27, 3
.LBB2_7:
	s_add_i32 s1, s24, -1
	s_mul_i32 s1, s1, s26
	s_add_i32 s2, s25, s1
.LBB2_8:
	s_abs_i32 s1, s13
	v_cvt_f32_u32_e32 v1, s1
	s_sub_i32 s25, 0, s1
	s_add_i32 s0, s2, s0
	s_abs_i32 s24, s0
	v_rcp_iflag_f32_e32 v1, v1
	s_xor_b32 s2, s0, s13
	s_ashr_i32 s2, s2, 31
	v_mul_f32_e32 v1, 0x4f7ffffe, v1
	v_cvt_u32_f32_e32 v1, v1
	s_nop 0
	v_readfirstlane_b32 s26, v1
	s_mul_i32 s25, s25, s26
	s_mul_hi_u32 s25, s26, s25
	s_add_i32 s26, s26, s25
	s_mul_hi_u32 s25, s24, s26
	s_mul_i32 s26, s25, s1
	s_sub_i32 s24, s24, s26
	s_add_i32 s27, s25, 1
	s_sub_i32 s26, s24, s1
	s_cmp_ge_u32 s24, s1
	s_cselect_b32 s25, s27, s25
	s_cselect_b32 s24, s26, s24
	s_add_i32 s26, s25, 1
	s_cmp_ge_u32 s24, s1
	s_cselect_b32 s1, s26, s25
	s_xor_b32 s1, s1, s2
	s_lshr_b32 s24, s23, 30
	s_sub_i32 s1, s1, s2
	s_add_i32 s24, s23, s24
	s_mul_i32 s2, s1, s13
	s_sub_i32 s0, s0, s2
	s_and_b32 s2, s24, -4
	s_sub_i32 s23, s23, s2
	s_cmp_ge_i32 s1, s2
	s_cselect_b32 s2, s23, 4
	s_abs_i32 s24, s2
	v_cvt_f32_u32_e32 v1, s24
	s_ashr_i32 s23, s1, 31
	s_lshr_b32 s23, s23, 30
	s_add_i32 s23, s1, s23
	v_rcp_iflag_f32_e32 v1, v1
	s_and_b32 s23, s23, -4
	s_sub_i32 s23, s1, s23
	s_sub_i32 s26, 0, s24
	v_mul_f32_e32 v1, 0x4f7ffffe, v1
	v_cvt_u32_f32_e32 v1, v1
	s_mul_i32 s13, s23, s13
	s_add_i32 s13, s13, s0
	s_abs_i32 s25, s13
	v_readfirstlane_b32 s27, v1
	s_mul_i32 s26, s26, s27
	s_mul_hi_u32 s26, s27, s26
	s_add_i32 s27, s27, s26
	s_mul_hi_u32 s26, s25, s27
	s_mul_i32 s27, s26, s24
	s_xor_b32 s0, s13, s2
	s_sub_i32 s25, s25, s27
	s_ashr_i32 s0, s0, 31
	s_add_i32 s27, s26, 1
	s_sub_i32 s28, s25, s24
	s_cmp_ge_u32 s25, s24
	s_cselect_b32 s26, s27, s26
	s_cselect_b32 s25, s28, s25
	s_add_i32 s27, s26, 1
	s_cmp_ge_u32 s25, s24
	s_cselect_b32 s24, s27, s26
	s_xor_b32 s24, s24, s0
	s_sub_i32 s0, s24, s0
	s_mul_i32 s2, s0, s2
	s_sub_i32 s2, s13, s2
	s_add_i32 s2, s2, s1
	s_sub_i32 s2, s2, s23
.LBB2_9:
	s_mov_b32 s13, s2
	s_mov_b32 s2, s0
.LBB2_10:
	s_waitcnt lgkmcnt(0)
	s_mul_i32 s0, s14, s3
	s_ashr_i32 s1, s0, 31
	s_lshl_b64 s[24:25], s[0:1], 3
	s_add_u32 s0, s4, s24
	s_addc_u32 s1, s5, s25
	s_add_u32 s4, s6, s24
	s_addc_u32 s5, s7, s25
	s_add_i32 s22, s22, -1
	s_mul_i32 s23, s22, s14
	v_lshrrev_b32_e32 v87, 1, v0
	s_add_i32 s7, s17, 0x1fffffff
	s_sub_i32 s18, s18, s23
	v_lshlrev_b32_e32 v1, 2, v0
	v_and_b32_e32 v88, 62, v87
	s_cmp_lt_u32 s3, s22
	v_and_b32_e32 v1, 12, v1
	v_lshl_or_b32 v2, s13, 6, v88
	s_cselect_b32 s18, s14, s18
	s_lshl_b32 s14, s2, 6
	v_mul_lo_u32 v86, v2, s19
	v_bitop3_b32 v84, v87, v1, 14 bitop3:0x6c
	v_lshlrev_b32_e32 v2, 6, v88
	s_ashr_i32 s2, s15, 31
	v_lshl_or_b32 v85, v84, 2, v2
	v_or_b32_e32 v2, s14, v88
	s_lshr_b32 s2, s2, 28
	v_lshlrev_b32_e32 v3, 2, v1
	v_mul_lo_u32 v89, v2, s20
	v_and_b32_e32 v83, 15, v0
	v_lshrrev_b32_e32 v82, 2, v0
	s_add_i32 s15, s15, s2
	s_mul_i32 s6, s12, s19
	s_mul_i32 s7, s7, s20
	v_add_u32_e32 v93, v86, v3
	v_add_u32_e32 v92, v89, v3
	v_and_b32_e32 v90, 12, v82
	v_bitop3_b32 v91, v82, v83, 12 bitop3:0x6c
	s_ashr_i32 s15, s15, 4
	v_and_b32_e32 v95, 14, v87
	; sched_barrier mask(0x00000000)
	v_add_u32_e32 v26, 12, v93
	s_add_i32 s2, s18, s6
	v_add_lshl_u32 v42, v26, s19, 3
	s_lshl_b32 s2, s2, 3
	s_and_b32 s1, s1, 0xffff
	s_mov_b32 s3, 0x20000
	v_lshlrev_b32_e32 v144, 3, v93
	v_lshlrev_b32_e32 v6, 3, v26
	v_subrev_u32_e32 v43, 64, v42
	buffer_load_dwordx4 v[96:99], v144, s[0:3], 0 offen
	buffer_load_dwordx4 v[100:103], v144, s[0:3], 0 offen offset:16
	buffer_load_dwordx4 v[18:21], v144, s[0:3], 0 offen offset:32
	;; [unrolled: 1-line block ×6, first 2 shown]
	v_add_u32_e32 v34, -16, v42
	buffer_load_dwordx4 v[6:9], v6, s[0:3], 0 offen
	s_nop 0
	buffer_load_dwordx4 v[26:29], v42, s[0:3], 0 offen
	buffer_load_dwordx4 v[30:33], v42, s[0:3], 0 offen offset:16
	v_subrev_u32_e32 v38, 32, v42
	buffer_load_dwordx4 v[62:65], v43, s[0:3], 0 offen
	v_subrev_u32_e32 v43, 48, v42
	v_add_u32_e32 v42, 0xffffffb0, v42
	buffer_load_dwordx4 v[66:69], v43, s[0:3], 0 offen
	buffer_load_dwordx4 v[104:107], v42, s[0:3], 0 offen
	v_add_lshl_u32 v42, v93, s19, 3
	buffer_load_dwordx4 v[108:111], v42, s[0:3], 0 offen
	s_add_i32 s18, s18, s7
	buffer_load_dwordx4 v[34:37], v34, s[0:3], 0 offen
	v_add_u32_e32 v112, 12, v92
	buffer_load_dwordx4 v[38:41], v38, s[0:3], 0 offen
	s_lshl_b32 s6, s18, 3
	s_and_b32 s5, s5, 0xffff
	s_mov_b32 s7, s3
	v_lshlrev_b32_e32 v94, 3, v92
	v_lshlrev_b32_e32 v78, 3, v112
	v_add_lshl_u32 v136, v112, s20, 3
	buffer_load_dwordx4 v[70:73], v94, s[4:7], 0 offen
	buffer_load_dwordx4 v[74:77], v94, s[4:7], 0 offen offset:16
	buffer_load_dwordx4 v[46:49], v94, s[4:7], 0 offen offset:32
	;; [unrolled: 1-line block ×6, first 2 shown]
	v_add_u32_e32 v120, -16, v136
	buffer_load_dwordx4 v[78:81], v78, s[4:7], 0 offen
	s_nop 0
	buffer_load_dwordx4 v[112:115], v136, s[4:7], 0 offen
	buffer_load_dwordx4 v[116:119], v136, s[4:7], 0 offen offset:16
	v_subrev_u32_e32 v124, 32, v136
	v_subrev_u32_e32 v128, 64, v136
	v_subrev_u32_e32 v132, 48, v136
	v_add_u32_e32 v136, 0xffffffb0, v136
	buffer_load_dwordx4 v[136:139], v136, s[4:7], 0 offen
	v_add_lshl_u32 v140, v92, s20, 3
	buffer_load_dwordx4 v[120:123], v120, s[4:7], 0 offen
	v_lshlrev_b32_e32 v145, 3, v85
	buffer_load_dwordx4 v[140:143], v140, s[4:7], 0 offen
	s_movk_i32 s23, 0x200
	buffer_load_dwordx4 v[124:127], v124, s[4:7], 0 offen
	s_mov_b32 s18, s6
	buffer_load_dwordx4 v[128:131], v128, s[4:7], 0 offen
	s_waitcnt vmcnt(30)
	ds_write_b128 v145, v[96:99]
	buffer_load_dwordx4 v[132:135], v132, s[4:7], 0 offen
	v_bitop3_b32 v98, v95, v1, 1 bitop3:0x36
	v_or_b32_e32 v96, 16, v145
	v_sub_u32_e32 v99, v98, v84
	s_waitcnt vmcnt(30)
	ds_write_b128 v145, v[100:103] offset:16
	v_lshl_add_u32 v100, v99, 2, v85
	v_lshl_add_u32 v96, v99, 5, v96
	v_bitop3_b32 v99, v95, v1, 1 bitop3:0x14
	v_sub_u32_e32 v98, v99, v98
	v_lshl_add_u32 v101, v98, 5, v96
	s_waitcnt vmcnt(19)
	ds_write_b128 v96, v[104:107] offset:512
	s_waitcnt vmcnt(18)
	ds_write_b128 v96, v[108:111] offset:496
	ds_write_b128 v101, v[62:65] offset:496
	v_bitop3_b32 v63, v1, v95, 1 bitop3:0x36
	v_lshl_add_u32 v62, v98, 2, v100
	v_sub_u32_e32 v64, v63, v99
	v_lshl_add_u32 v62, v64, 2, v62
	v_lshlrev_b32_e32 v64, 5, v64
	v_add_u32_e32 v65, v101, v64
	ds_write_b128 v101, v[66:69] offset:512
	ds_write_b128 v65, v[22:25]
	v_add_u32_e32 v22, -16, v65
	ds_write_b128 v22, v[18:21]
	v_bitop3_b32 v19, v1, v95, 2 bitop3:0x36
	v_sub_u32_e32 v20, v19, v63
	v_lshlrev_b32_e32 v21, 5, v20
	v_add_u32_e32 v22, v22, v21
	ds_write_b128 v22, v[14:17]
	v_add_u32_e32 v15, v65, v21
	v_or_b32_e32 v97, 1, v95
	ds_write_b128 v15, v[10:13]
	v_or_b32_e32 v10, 3, v1
	v_bitop3_b32 v11, v1, v97, 2 bitop3:0x36
	v_bitop3_b32 v16, v95, v10, 1 bitop3:0x36
	v_sub_u32_e32 v12, v11, v19
	v_sub_u32_e32 v11, v16, v11
	v_lshl_add_u32 v14, v20, 2, v62
	v_lshlrev_b32_e32 v13, 2, v12
	v_lshlrev_b32_e32 v17, 2, v11
	v_lshl_add_u32 v12, v12, 5, v15
	v_add3_u32 v13, v13, v14, v17
	v_lshl_add_u32 v14, v11, 5, v12
	v_bitop3_b32 v11, v1, v95, 3 bitop3:0x36
	v_sub_u32_e32 v15, v11, v16
	v_sub_u32_e32 v11, v84, v11
	v_lshlrev_b32_e32 v16, 2, v15
	v_lshlrev_b32_e32 v11, 2, v11
	v_add3_u32 v11, v13, v16, v11
	v_lshlrev_b32_e32 v13, 5, v15
	v_add_u32_e32 v15, v14, v13
	s_waitcnt vmcnt(17)
	ds_write_b128 v12, v[34:37] offset:512
	s_waitcnt vmcnt(16)
	ds_write_b128 v12, v[38:41] offset:496
	ds_write_b128 v14, v[26:29] offset:496
	;; [unrolled: 1-line block ×3, first 2 shown]
	ds_write_b128 v15, v[2:5]
	v_add_u32_e32 v2, -16, v15
	ds_write_b128 v2, v[6:9]
	s_waitcnt vmcnt(15)
	ds_write_b128 v145, v[70:73] offset:32768
	s_waitcnt vmcnt(14)
	ds_write_b128 v145, v[74:77] offset:32784
	;; [unrolled: 2-line block ×6, first 2 shown]
	v_add3_u32 v2, v101, s23, v64
	ds_write_b128 v2, v[58:61] offset:32256
	ds_write_b128 v2, v[46:49] offset:32240
	v_add_u32_e32 v2, v2, v21
	ds_write_b128 v2, v[50:53] offset:32240
	ds_write_b128 v2, v[54:57] offset:32256
	;; [unrolled: 1-line block ×6, first 2 shown]
	v_add3_u32 v2, v14, s23, v13
	ds_write_b128 v2, v[42:45] offset:32256
	ds_write_b128 v2, v[78:81] offset:32240
	v_add_u32_e32 v2, 0x4c, v93
	v_lshlrev_b32_e32 v3, 3, v2
	v_add_lshl_u32 v2, v2, s19, 3
	buffer_load_dwordx4 v[128:131], v144, s[0:3], 0 offen offset:512
	buffer_load_dwordx4 v[132:135], v144, s[0:3], 0 offen offset:528
	;; [unrolled: 1-line block ×7, first 2 shown]
	buffer_load_dwordx4 v[168:171], v3, s[0:3], 0 offen
	v_add_u32_e32 v3, -16, v2
	buffer_load_dwordx4 v[180:183], v2, s[0:3], 0 offen
	buffer_load_dwordx4 v[184:187], v2, s[0:3], 0 offen offset:16
	buffer_load_dwordx4 v[196:199], v3, s[0:3], 0 offen
	v_subrev_u32_e32 v3, 32, v2
	buffer_load_dwordx4 v[200:203], v3, s[0:3], 0 offen
	v_subrev_u32_e32 v3, 64, v2
	;; [unrolled: 2-line block ×3, first 2 shown]
	buffer_load_dwordx4 a[100:103], v3, s[0:3], 0 offen
	v_add_u32_e32 v3, 0xffffffb0, v2
	v_add_u32_e32 v2, 0xffffffa0, v2
	buffer_load_dwordx4 a[116:119], v3, s[0:3], 0 offen
	buffer_load_dwordx4 a[112:115], v2, s[0:3], 0 offen
	buffer_load_dwordx4 v[156:159], v94, s[4:7], 0 offen offset:512
	buffer_load_dwordx4 v[160:163], v94, s[4:7], 0 offen offset:528
	;; [unrolled: 1-line block ×7, first 2 shown]
	v_add_u32_e32 v2, 0x4c, v92
	v_lshlrev_b32_e32 v3, 3, v2
	v_add_lshl_u32 v2, v2, s20, 3
	buffer_load_dwordx4 v[236:239], v3, s[4:7], 0 offen
	v_add_u32_e32 v3, -16, v2
	buffer_load_dwordx4 a[168:171], v2, s[4:7], 0 offen
	buffer_load_dwordx4 a[176:179], v2, s[4:7], 0 offen offset:16
	buffer_load_dwordx4 a[184:187], v3, s[4:7], 0 offen
	v_subrev_u32_e32 v3, 32, v2
	buffer_load_dwordx4 a[188:191], v3, s[4:7], 0 offen
	v_subrev_u32_e32 v3, 64, v2
	;; [unrolled: 2-line block ×3, first 2 shown]
	buffer_load_dwordx4 a[212:215], v3, s[4:7], 0 offen
	v_add_u32_e32 v3, 0xffffffb0, v2
	v_add_u32_e32 v2, 0xffffffa0, v2
	buffer_load_dwordx4 a[216:219], v3, s[4:7], 0 offen
	buffer_load_dwordx4 a[220:223], v2, s[4:7], 0 offen
	v_bitop3_b32 v4, v90, v83, 1 bitop3:0x36
	v_bitop3_b32 v6, v90, v83, 2 bitop3:0x36
	v_bitop3_b32 v8, v90, v83, 3 bitop3:0x36
	v_lshlrev_b32_e32 v3, 5, v91
	v_and_or_b32 v2, v82, 16, v83
	v_sub_u32_e32 v4, v4, v91
	v_sub_u32_e32 v6, v6, v91
	;; [unrolled: 1-line block ×3, first 2 shown]
	v_lshl_or_b32 v2, v2, 9, v3
	v_lshl_or_b32 v3, v83, 9, v3
	v_lshlrev_b32_e32 v5, 5, v4
	v_lshlrev_b32_e32 v7, 5, v6
	;; [unrolled: 1-line block ×3, first 2 shown]
	v_add_u32_e32 v4, v2, v5
	v_add_u32_e32 v5, v3, v5
	;; [unrolled: 1-line block ×6, first 2 shown]
	s_waitcnt lgkmcnt(0)
	s_barrier
	ds_read_b128 a[192:195], v2
	ds_read_b128 a[172:175], v2 offset:16
	ds_read_b128 v[204:207], v2 offset:16400
	ds_read_b128 v[216:219], v2 offset:16384
	ds_read_b128 a[200:203], v3 offset:32768
	ds_read_b128 a[152:155], v3 offset:32784
	ds_read_b128 a[108:111], v3 offset:40976
	ds_read_b128 a[196:199], v3 offset:40960
	ds_read_b128 a[180:183], v3 offset:49168
	ds_read_b128 a[204:207], v3 offset:49152
	ds_read_b128 a[72:75], v3 offset:57360
	ds_read_b128 a[128:131], v3 offset:57344
	ds_read_b128 a[120:123], v4
	ds_read_b128 a[80:83], v4 offset:16
	ds_read_b128 v[188:191], v4 offset:16400
	ds_read_b128 v[208:211], v4 offset:16384
	ds_read_b128 a[144:147], v5 offset:32768
	ds_read_b128 a[68:71], v5 offset:32784
	ds_read_b128 v[232:235], v5 offset:40976
	ds_read_b128 a[148:151], v5 offset:40960
	ds_read_b128 a[156:159], v5 offset:49168
	ds_read_b128 a[164:167], v5 offset:49152
	ds_read_b128 v[244:247], v5 offset:57360
	ds_read_b128 a[96:99], v5 offset:57344
	;; [unrolled: 12-line block ×4, first 2 shown]
	v_or_b32_e32 v85, 1, v1
	v_or_b32_e32 v18, 2, v1
	; sched_barrier mask(0x00000000)
	v_or_b32_e32 v12, 1, v87
	s_max_i32 s6, s15, 2
	v_sub_u32_e32 v17, v12, v88
	v_and_b32_e32 v14, 3, v0
	v_mov_b64_e32 v[24:25], 0
	v_lshlrev_b32_e32 v13, 6, v17
	v_lshlrev_b32_e32 v14, 7, v14
	v_add_lshl_u32 v15, v89, s20, 3
	v_lshlrev_b32_e32 v16, 3, v89
	v_add_u32_e32 v17, -1, v17
	v_add_lshl_u32 v19, v86, s19, 3
	v_lshlrev_b32_e32 v20, 3, v86
	s_add_i32 s15, s6, -1
	v_not_b32_e32 v21, 63
	s_mov_b32 s6, s18
	v_mov_b32_e32 v22, v11
	v_mov_b64_e32 v[26:27], v[24:25]
	v_mov_b64_e32 v[28:29], v[24:25]
	;; [unrolled: 1-line block ×31, first 2 shown]
.LBB2_11:                               ; =>This Inner Loop Header: Depth=1
	v_ashrrev_i32_e32 v80, 31, v12
	v_lshlrev_b32_e32 v23, 3, v22
	v_lshrrev_b32_e32 v80, 28, v80
	s_waitcnt lgkmcnt(0)
	s_barrier
	s_waitcnt vmcnt(31)
	ds_write_b128 v23, v[128:131]
	v_add_u32_e32 v80, v12, v80
	v_add_u32_e32 v130, -1, v12
	v_and_b32_e32 v80, -16, v80
	v_ashrrev_i32_e32 v131, 31, v130
	v_sub_u32_e32 v80, v12, v80
	v_lshrrev_b32_e32 v131, 28, v131
	v_xor_b32_e32 v81, v80, v1
	v_add_u32_e32 v131, v130, v131
	v_sub_u32_e32 v84, v81, v84
	v_and_b32_e32 v131, -16, v131
	v_lshl_add_u32 v94, v84, 2, v13
	v_xor_b32_e32 v84, v80, v85
	v_sub_u32_e32 v130, v130, v131
	v_lshlrev_b32_e32 v95, 3, v94
	v_sub_u32_e32 v81, v84, v81
	v_xor_b32_e32 v131, v130, v85
	s_waitcnt vmcnt(30)
	ds_write_b128 v23, v[132:135] offset:16
	v_add_u32_e32 v23, v23, v95
	v_lshlrev_b32_e32 v128, 2, v81
	v_lshlrev_b32_e32 v81, 5, v81
	v_sub_u32_e32 v132, v131, v84
	s_waitcnt vmcnt(17)
	ds_write_b128 v23, a[116:119] offset:16
	s_waitcnt vmcnt(16)
	ds_write_b128 v23, a[112:115]
	v_add_u32_e32 v23, v23, v81
	v_lshl_add_u32 v133, v132, 2, v21
	v_add_u32_e32 v129, 16, v23
	v_lshlrev_b32_e32 v84, 3, v133
	ds_write_b128 v23, a[92:95]
	ds_write_b128 v23, a[100:103] offset:16
	v_add_u32_e32 v129, v129, v84
	v_add_u32_e32 v23, v23, v84
	v_xor_b32_e32 v84, v130, v18
	ds_write_b128 v23, v[108:111]
	v_sub_u32_e32 v108, v84, v131
	v_lshlrev_b32_e32 v109, 2, v108
	v_lshlrev_b32_e32 v108, 5, v108
	v_add_u32_e32 v23, v23, v108
	ds_write_b128 v23, v[100:103]
	v_xor_b32_e32 v100, v80, v18
	v_sub_u32_e32 v84, v100, v84
	v_lshlrev_b32_e32 v102, 5, v84
	ds_write_b128 v129, v[112:115]
	ds_write_b128 v23, v[104:107] offset:16
	v_add_u32_e32 v23, v23, v102
	v_lshl_add_u32 v101, v84, 2, 64
	ds_write_b128 v23, v[196:199] offset:528
	v_add_u32_e32 v84, 0x200, v23
	ds_write_b128 v23, v[200:203] offset:512
	v_xor_b32_e32 v23, v80, v10
	v_sub_u32_e32 v80, v23, v100
	v_xor_b32_e32 v104, v130, v10
	v_lshlrev_b32_e32 v100, 2, v80
	v_lshlrev_b32_e32 v80, 5, v80
	v_sub_u32_e32 v23, v104, v23
	v_add_u32_e32 v84, v84, v80
	v_lshl_add_u32 v105, v23, 2, v21
	v_add_u32_e32 v103, 16, v84
	v_lshlrev_b32_e32 v106, 3, v105
	v_add_u32_e32 v103, v103, v106
	ds_write_b128 v84, v[184:187] offset:16
	ds_write_b128 v103, v[96:99]
	v_lshlrev_b32_e32 v97, 3, v11
	v_add_u32_e32 v95, v95, v97
	ds_write_b128 v84, v[180:183]
	v_add_u32_e32 v84, v84, v106
	v_add_u32_e32 v81, v95, v81
	ds_write_b128 v84, v[168:171]
	s_waitcnt vmcnt(15)
	ds_write_b128 v97, v[156:159] offset:32768
	s_waitcnt vmcnt(14)
	ds_write_b128 v97, v[160:163] offset:32784
	;; [unrolled: 2-line block ×4, first 2 shown]
	ds_write_b128 v81, a[208:211] offset:32768
	ds_write_b128 v81, a[212:215] offset:32784
	v_lshl_add_u32 v81, v132, 5, v81
	ds_write_b128 v81, v[152:155] offset:32272
	ds_write_b128 v81, v[140:143] offset:32256
	v_add_u32_e32 v81, v81, v108
	ds_write_b128 v81, v[144:147] offset:32256
	ds_write_b128 v81, v[148:151] offset:32272
	v_add_u32_e32 v81, v81, v102
	v_add_u32_e32 v80, v81, v80
	v_lshl_add_u32 v23, v23, 5, v80
	v_accvgpr_write_b32 a56, v86
	ds_write_b128 v81, a[184:187] offset:32784
	ds_write_b128 v81, a[188:191] offset:32768
	;; [unrolled: 1-line block ×6, first 2 shown]
	v_add_u32_e32 v23, v14, v20
	v_accvgpr_write_b32 a57, v87
	v_accvgpr_write_b32 a58, v88
	;; [unrolled: 1-line block ×7, first 2 shown]
	v_add3_u32 v22, v22, v94, v128
	v_xor_b32_e32 v84, v130, v1
	v_add3_u32 v11, v94, v11, v128
	buffer_load_dwordx4 v[128:131], v23, s[0:3], 0 offen offset:1024
	v_mfma_f64_16x16x4_f64 a[56:63], a[192:193], a[200:201], a[56:63]
	v_accvgpr_write_b32 a48, v72
	v_accvgpr_write_b32 a49, v73
	;; [unrolled: 1-line block ×8, first 2 shown]
	v_add3_u32 v22, v22, v133, v109
	v_add3_u32 v11, v11, v133, v109
	v_accvgpr_write_b32 a40, v64
	v_accvgpr_write_b32 a41, v65
	;; [unrolled: 1-line block ×5, first 2 shown]
	v_mfma_f64_16x16x4_f64 a[56:63], a[194:195], a[202:203], a[56:63]
	v_accvgpr_write_b32 a45, v69
	v_accvgpr_write_b32 a46, v70
	;; [unrolled: 1-line block ×11, first 2 shown]
	v_add3_u32 v22, v22, v101, v100
	v_add3_u32 v11, v11, v101, v100
	v_sub_u32_e32 v96, v84, v104
	v_accvgpr_write_b32 a0, v48
	v_mfma_f64_16x16x4_f64 a[56:63], a[172:173], a[152:153], a[56:63]
	buffer_load_dwordx4 v[132:135], v23, s[0:3], 0 offen offset:1040
	; sched_group_barrier mask(0x00000020) size(1) SyncID(0)
	; sched_group_barrier mask(0x00000008) size(3) SyncID(0)
	;; [unrolled: 1-line block ×3, first 2 shown]
	v_lshlrev_b32_e32 v96, 2, v96
	v_accvgpr_write_b32 a1, v49
	v_accvgpr_write_b32 a2, v50
	;; [unrolled: 1-line block ×7, first 2 shown]
	v_add3_u32 v22, v22, v105, v96
	v_add3_u32 v11, v11, v105, v96
	v_accvgpr_write_b32 a8, v40
	v_accvgpr_write_b32 a9, v41
	;; [unrolled: 1-line block ×24, first 2 shown]
	v_mfma_f64_16x16x4_f64 a[48:55], a[192:193], a[196:197], a[48:55]
	v_mfma_f64_16x16x4_f64 a[56:63], a[174:175], a[154:155], a[56:63]
	v_mfma_f64_16x16x4_f64 a[48:55], a[194:195], a[198:199], a[48:55]
	buffer_load_dwordx4 v[108:111], v23, s[0:3], 0 offen offset:1056
	; sched_group_barrier mask(0x00000008) size(3) SyncID(0)
	; sched_group_barrier mask(0x00000020) size(1) SyncID(0)
	v_mfma_f64_16x16x4_f64 a[40:47], a[192:193], a[204:205], a[40:47]
	v_mfma_f64_16x16x4_f64 a[48:55], a[172:173], a[108:109], a[48:55]
	v_mfma_f64_16x16x4_f64 a[48:55], a[174:175], a[110:111], a[48:55]
	buffer_load_dwordx4 v[112:115], v23, s[0:3], 0 offen offset:1072
	; sched_group_barrier mask(0x00000008) size(3) SyncID(0)
	; sched_group_barrier mask(0x00000020) size(1) SyncID(0)
	v_mfma_f64_16x16x4_f64 a[40:47], a[194:195], a[206:207], a[40:47]
	v_mfma_f64_16x16x4_f64 a[40:47], a[172:173], a[180:181], a[40:47]
	v_mfma_f64_16x16x4_f64 a[40:47], a[174:175], a[182:183], a[40:47]
	buffer_load_dwordx4 v[100:103], v23, s[0:3], 0 offen offset:1088
	; sched_group_barrier mask(0x00000008) size(3) SyncID(0)
	; sched_group_barrier mask(0x00000020) size(1) SyncID(0)
	v_mfma_f64_16x16x4_f64 a[32:39], a[192:193], a[128:129], a[32:39]
	v_mfma_f64_16x16x4_f64 a[32:39], a[194:195], a[130:131], a[32:39]
	v_mfma_f64_16x16x4_f64 a[32:39], a[172:173], a[72:73], a[32:39]
	buffer_load_dwordx4 v[104:107], v23, s[0:3], 0 offen offset:1104
	; sched_group_barrier mask(0x00000008) size(3) SyncID(0)
	; sched_group_barrier mask(0x00000020) size(1) SyncID(0)
	v_mfma_f64_16x16x4_f64 a[0:7], v[216:217], a[200:201], a[0:7]
	v_mfma_f64_16x16x4_f64 a[32:39], a[174:175], a[74:75], a[32:39]
	v_mfma_f64_16x16x4_f64 a[0:7], v[218:219], a[202:203], a[0:7]
	buffer_load_dwordx4 v[96:99], v23, s[0:3], 0 offen offset:1136
	; sched_group_barrier mask(0x00000008) size(3) SyncID(0)
	; sched_group_barrier mask(0x00000020) size(1) SyncID(0)
	v_mfma_f64_16x16x4_f64 a[8:15], v[216:217], a[196:197], a[8:15]
	v_mfma_f64_16x16x4_f64 a[0:7], v[204:205], a[152:153], a[0:7]
	v_mfma_f64_16x16x4_f64 a[0:7], v[206:207], a[154:155], a[0:7]
	buffer_load_dwordx4 v[168:171], v23, s[0:3], 0 offen offset:1120
	; sched_group_barrier mask(0x00000008) size(3) SyncID(0)
	; sched_group_barrier mask(0x00000020) size(1) SyncID(0)
	v_add_u32_e32 v23, v14, v19
	v_mfma_f64_16x16x4_f64 a[8:15], v[218:219], a[198:199], a[8:15]
	v_mfma_f64_16x16x4_f64 a[8:15], v[204:205], a[108:109], a[8:15]
	v_mfma_f64_16x16x4_f64 a[8:15], v[206:207], a[110:111], a[8:15]
	buffer_load_dwordx4 v[180:183], v23, s[0:3], 0 offen offset:1120
	; sched_group_barrier mask(0x00000008) size(3) SyncID(0)
	; sched_group_barrier mask(0x00000020) size(1) SyncID(0)
	v_mfma_f64_16x16x4_f64 a[24:31], v[216:217], a[204:205], a[24:31]
	v_mfma_f64_16x16x4_f64 a[24:31], v[218:219], a[206:207], a[24:31]
	v_mfma_f64_16x16x4_f64 a[24:31], v[204:205], a[180:181], a[24:31]
	buffer_load_dwordx4 v[184:187], v23, s[0:3], 0 offen offset:1136
	; sched_group_barrier mask(0x00000008) size(3) SyncID(0)
	; sched_group_barrier mask(0x00000020) size(1) SyncID(0)
	v_mfma_f64_16x16x4_f64 a[16:23], v[216:217], a[128:129], a[16:23]
	v_mfma_f64_16x16x4_f64 a[24:31], v[206:207], a[182:183], a[24:31]
	v_mfma_f64_16x16x4_f64 a[16:23], v[218:219], a[130:131], a[16:23]
	buffer_load_dwordx4 v[196:199], v23, s[0:3], 0 offen offset:1104
	; sched_group_barrier mask(0x00000008) size(3) SyncID(0)
	; sched_group_barrier mask(0x00000020) size(1) SyncID(0)
	v_mfma_f64_16x16x4_f64 a[56:63], a[120:121], a[144:145], a[56:63]
	v_mfma_f64_16x16x4_f64 a[16:23], v[204:205], a[72:73], a[16:23]
	v_mfma_f64_16x16x4_f64 a[16:23], v[206:207], a[74:75], a[16:23]
	buffer_load_dwordx4 v[200:203], v23, s[0:3], 0 offen offset:1088
	; sched_group_barrier mask(0x00000008) size(3) SyncID(0)
	; sched_group_barrier mask(0x00000020) size(1) SyncID(0)
	v_mfma_f64_16x16x4_f64 a[56:63], a[122:123], a[146:147], a[56:63]
	v_mfma_f64_16x16x4_f64 a[56:63], a[80:81], a[68:69], a[56:63]
	v_mfma_f64_16x16x4_f64 a[56:63], a[82:83], a[70:71], a[56:63]
	buffer_load_dwordx4 a[112:115], v23, s[0:3], 0 offen offset:1024
	; sched_group_barrier mask(0x00000008) size(3) SyncID(0)
	; sched_group_barrier mask(0x00000020) size(1) SyncID(0)
	v_mfma_f64_16x16x4_f64 a[48:55], a[120:121], a[148:149], a[48:55]
	v_mfma_f64_16x16x4_f64 a[48:55], a[122:123], a[150:151], a[48:55]
	v_mfma_f64_16x16x4_f64 a[48:55], a[80:81], v[232:233], a[48:55]
	buffer_load_dwordx4 a[116:119], v23, s[0:3], 0 offen offset:1040
	; sched_group_barrier mask(0x00000008) size(3) SyncID(0)
	; sched_group_barrier mask(0x00000020) size(1) SyncID(0)
	v_mfma_f64_16x16x4_f64 a[40:47], a[120:121], a[164:165], a[40:47]
	v_mfma_f64_16x16x4_f64 a[48:55], a[82:83], v[234:235], a[48:55]
	v_mfma_f64_16x16x4_f64 a[40:47], a[122:123], a[166:167], a[40:47]
	buffer_load_dwordx4 a[92:95], v23, s[0:3], 0 offen offset:1056
	; sched_group_barrier mask(0x00000008) size(3) SyncID(0)
	; sched_group_barrier mask(0x00000020) size(1) SyncID(0)
	v_mfma_f64_16x16x4_f64 a[32:39], a[120:121], a[96:97], a[32:39]
	v_mfma_f64_16x16x4_f64 a[40:47], a[80:81], a[156:157], a[40:47]
	v_mfma_f64_16x16x4_f64 a[40:47], a[82:83], a[158:159], a[40:47]
	buffer_load_dwordx4 a[100:103], v23, s[0:3], 0 offen offset:1072
	; sched_group_barrier mask(0x00000008) size(3) SyncID(0)
	; sched_group_barrier mask(0x00000020) size(1) SyncID(0)
	v_add_u32_e32 v23, v14, v16
	v_mfma_f64_16x16x4_f64 a[32:39], a[122:123], a[98:99], a[32:39]
	v_mfma_f64_16x16x4_f64 a[32:39], a[80:81], v[244:245], a[32:39]
	v_mfma_f64_16x16x4_f64 a[32:39], a[82:83], v[246:247], a[32:39]
	buffer_load_dwordx4 v[156:159], v23, s[4:7], 0 offen offset:1024
	; sched_group_barrier mask(0x00000008) size(3) SyncID(0)
	; sched_group_barrier mask(0x00000020) size(1) SyncID(0)
	v_mfma_f64_16x16x4_f64 a[0:7], v[208:209], a[144:145], a[0:7]
	v_mfma_f64_16x16x4_f64 a[0:7], v[210:211], a[146:147], a[0:7]
	v_mfma_f64_16x16x4_f64 a[0:7], v[188:189], a[68:69], a[0:7]
	buffer_load_dwordx4 v[160:163], v23, s[4:7], 0 offen offset:1040
	; sched_group_barrier mask(0x00000008) size(3) SyncID(0)
	; sched_group_barrier mask(0x00000020) size(1) SyncID(0)
	v_mfma_f64_16x16x4_f64 a[8:15], v[208:209], a[148:149], a[8:15]
	v_mfma_f64_16x16x4_f64 a[0:7], v[190:191], a[70:71], a[0:7]
	v_mfma_f64_16x16x4_f64 a[8:15], v[210:211], a[150:151], a[8:15]
	buffer_load_dwordx4 v[140:143], v23, s[4:7], 0 offen offset:1056
	; sched_group_barrier mask(0x00000008) size(3) SyncID(0)
	; sched_group_barrier mask(0x00000020) size(1) SyncID(0)
	v_mfma_f64_16x16x4_f64 a[24:31], v[208:209], a[164:165], a[24:31]
	v_mfma_f64_16x16x4_f64 a[8:15], v[188:189], v[232:233], a[8:15]
	v_mfma_f64_16x16x4_f64 a[8:15], v[190:191], v[234:235], a[8:15]
	buffer_load_dwordx4 v[152:155], v23, s[4:7], 0 offen offset:1072
	; sched_group_barrier mask(0x00000008) size(3) SyncID(0)
	; sched_group_barrier mask(0x00000020) size(1) SyncID(0)
	v_mfma_f64_16x16x4_f64 a[24:31], v[210:211], a[166:167], a[24:31]
	v_mfma_f64_16x16x4_f64 a[24:31], v[188:189], a[156:157], a[24:31]
	v_mfma_f64_16x16x4_f64 a[24:31], v[190:191], a[158:159], a[24:31]
	buffer_load_dwordx4 v[144:147], v23, s[4:7], 0 offen offset:1088
	; sched_group_barrier mask(0x00000008) size(3) SyncID(0)
	; sched_group_barrier mask(0x00000020) size(1) SyncID(0)
	v_mfma_f64_16x16x4_f64 a[16:23], v[208:209], a[96:97], a[16:23]
	v_mfma_f64_16x16x4_f64 a[16:23], v[210:211], a[98:99], a[16:23]
	v_mfma_f64_16x16x4_f64 a[16:23], v[188:189], v[244:245], a[16:23]
	buffer_load_dwordx4 v[148:151], v23, s[4:7], 0 offen offset:1104
	; sched_group_barrier mask(0x00000008) size(3) SyncID(0)
	; sched_group_barrier mask(0x00000020) size(1) SyncID(0)
	v_mfma_f64_16x16x4_f64 a[56:63], a[84:85], a[124:125], a[56:63]
	v_mfma_f64_16x16x4_f64 a[16:23], v[190:191], v[246:247], a[16:23]
	v_mfma_f64_16x16x4_f64 a[56:63], a[86:87], a[126:127], a[56:63]
	buffer_load_dwordx4 v[136:139], v23, s[4:7], 0 offen offset:1136
	; sched_group_barrier mask(0x00000008) size(3) SyncID(0)
	; sched_group_barrier mask(0x00000020) size(1) SyncID(0)
	v_mfma_f64_16x16x4_f64 a[48:55], a[84:85], a[132:133], a[48:55]
	v_mfma_f64_16x16x4_f64 a[56:63], v[248:249], v[240:241], a[56:63]
	v_mfma_f64_16x16x4_f64 a[56:63], v[250:251], v[242:243], a[56:63]
	buffer_load_dwordx4 v[236:239], v23, s[4:7], 0 offen offset:1120
	; sched_group_barrier mask(0x00000008) size(3) SyncID(0)
	; sched_group_barrier mask(0x00000020) size(1) SyncID(0)
	v_add_u32_e32 v23, v14, v15
	v_mfma_f64_16x16x4_f64 a[48:55], a[86:87], a[134:135], a[48:55]
	v_mfma_f64_16x16x4_f64 a[48:55], v[248:249], v[212:213], a[48:55]
	v_mfma_f64_16x16x4_f64 a[48:55], v[250:251], v[214:215], a[48:55]
	buffer_load_dwordx4 a[168:171], v23, s[4:7], 0 offen offset:1120
	; sched_group_barrier mask(0x00000008) size(3) SyncID(0)
	; sched_group_barrier mask(0x00000020) size(1) SyncID(0)
	v_mfma_f64_16x16x4_f64 a[40:47], a[84:85], a[160:161], a[40:47]
	v_mfma_f64_16x16x4_f64 a[40:47], a[86:87], a[162:163], a[40:47]
	v_mfma_f64_16x16x4_f64 a[40:47], v[248:249], a[136:137], a[40:47]
	buffer_load_dwordx4 a[176:179], v23, s[4:7], 0 offen offset:1136
	; sched_group_barrier mask(0x00000008) size(3) SyncID(0)
	; sched_group_barrier mask(0x00000020) size(1) SyncID(0)
	v_mfma_f64_16x16x4_f64 a[32:39], a[84:85], a[64:65], a[32:39]
	v_mfma_f64_16x16x4_f64 a[40:47], v[250:251], a[138:139], a[40:47]
	;; [unrolled: 1-line block ×3, first 2 shown]
	buffer_load_dwordx4 a[184:187], v23, s[4:7], 0 offen offset:1104
	; sched_group_barrier mask(0x00000008) size(3) SyncID(0)
	; sched_group_barrier mask(0x00000020) size(1) SyncID(0)
	v_mfma_f64_16x16x4_f64 a[0:7], v[192:193], a[124:125], a[0:7]
	v_mfma_f64_16x16x4_f64 a[40:47], v[252:253], a[140:141], a[40:47]
	v_mfma_f64_16x16x4_f64 a[32:39], v[248:249], v[228:229], a[32:39]
	v_mfma_f64_16x16x4_f64 a[40:47], v[254:255], a[142:143], a[40:47]
	v_mfma_f64_16x16x4_f64 a[32:39], v[250:251], v[230:231], a[32:39]
	buffer_load_dwordx4 a[188:191], v23, s[4:7], 0 offen offset:1088
	; sched_group_barrier mask(0x00000008) size(3) SyncID(0)
	; sched_group_barrier mask(0x00000020) size(1) SyncID(0)
	v_mfma_f64_16x16x4_f64 a[0:7], v[194:195], a[126:127], a[0:7]
	v_mfma_f64_16x16x4_f64 a[40:47], v[224:225], a[104:105], a[40:47]
	v_mfma_f64_16x16x4_f64 a[32:39], v[252:253], v[220:221], a[32:39]
	v_mfma_f64_16x16x4_f64 a[0:7], v[176:177], v[240:241], a[0:7]
	v_mfma_f64_16x16x4_f64 a[40:47], v[226:227], a[106:107], a[40:47]
	v_mfma_f64_16x16x4_f64 a[32:39], v[254:255], v[222:223], a[32:39]
	v_mfma_f64_16x16x4_f64 a[0:7], v[178:179], v[242:243], a[0:7]
	buffer_load_dwordx4 a[220:223], v23, s[4:7], 0 offen offset:1024
	; sched_group_barrier mask(0x00000008) size(3) SyncID(0)
	; sched_group_barrier mask(0x00000020) size(1) SyncID(0)
	v_mfma_f64_16x16x4_f64 a[8:15], v[192:193], a[132:133], a[8:15]
	v_mfma_f64_16x16x4_f64 a[32:39], v[224:225], v[164:165], a[32:39]
	;; [unrolled: 10-line block ×3, first 2 shown]
	v_mfma_f64_16x16x4_f64 a[8:15], v[178:179], v[214:215], a[8:15]
	v_mfma_f64_16x16x4_f64 a[24:31], v[194:195], a[162:163], a[24:31]
	buffer_load_dwordx4 a[208:211], v23, s[4:7], 0 offen offset:1056
	; sched_group_barrier mask(0x00000008) size(3) SyncID(0)
	; sched_group_barrier mask(0x00000020) size(1) SyncID(0)
	v_mfma_f64_16x16x4_f64 a[16:23], v[192:193], a[64:65], a[16:23]
	v_mfma_f64_16x16x4_f64 a[0:7], v[118:119], v[122:123], a[0:7]
	;; [unrolled: 1-line block ×6, first 2 shown]
	buffer_load_dwordx4 a[212:215], v23, s[4:7], 0 offen offset:1072
	s_waitcnt lgkmcnt(0)
	s_barrier
	ds_read_b128 a[120:123], v4
	ds_read_b128 a[80:83], v4 offset:16
	ds_read_b128 v[208:211], v4 offset:16384
	ds_read_b128 v[188:191], v4 offset:16400
	ds_read_b128 a[144:147], v5 offset:32768
	ds_read_b128 a[68:71], v5 offset:32784
	ds_read_b128 a[148:151], v5 offset:40960
	ds_read_b128 v[232:235], v5 offset:40976
	ds_read_b128 a[156:159], v5 offset:49168
	ds_read_b128 a[164:167], v5 offset:49152
	ds_read_b128 v[244:247], v5 offset:57360
	ds_read_b128 a[96:99], v5 offset:57344
	ds_read_b128 a[84:87], v6
	ds_read_b128 v[248:251], v6 offset:16
	ds_read_b128 a[124:127], v7 offset:32768
	;; [unrolled: 1-line block ×7, first 2 shown]
	; sched_group_barrier mask(0x00000008) size(3) SyncID(0)
	; sched_group_barrier mask(0x00000020) size(1) SyncID(0)
	v_mfma_f64_16x16x4_f64 a[16:23], v[194:195], a[66:67], a[16:23]
	ds_read_b128 v[192:195], v6 offset:16384
	ds_read_b128 a[64:67], v7 offset:57344
	v_mfma_f64_16x16x4_f64 a[24:31], v[172:173], a[140:141], a[24:31]
	v_mfma_f64_16x16x4_f64 a[8:15], v[116:117], v[124:125], a[8:15]
	;; [unrolled: 1-line block ×4, first 2 shown]
	ds_read_b128 a[140:143], v9 offset:49152
	v_mfma_f64_16x16x4_f64 a[8:15], v[118:119], v[126:127], a[8:15]
	v_mfma_f64_16x16x4_f64 a[16:23], v[178:179], v[230:231], a[16:23]
	ds_read_b128 a[192:195], v2
	ds_read_b128 a[172:175], v2 offset:16
	ds_read_b128 v[176:179], v6 offset:16400
	;; [unrolled: 1-line block ×3, first 2 shown]
	; sched_group_barrier mask(0x00000008) size(3) SyncID(0)
	; sched_group_barrier mask(0x00000100) size(2) SyncID(0)
	v_mfma_f64_16x16x4_f64 a[56:63], v[252:253], a[88:89], a[56:63]
	ds_read_b128 v[204:207], v2 offset:16400
	ds_read_b128 v[216:219], v2 offset:16384
	; sched_group_barrier mask(0x00000008) size(1) SyncID(0)
	; sched_group_barrier mask(0x00000100) size(2) SyncID(0)
	v_mfma_f64_16x16x4_f64 a[24:31], v[116:117], a[104:105], a[24:31]
	v_mfma_f64_16x16x4_f64 a[16:23], v[172:173], v[220:221], a[16:23]
	;; [unrolled: 1-line block ×3, first 2 shown]
	ds_read_b128 a[200:203], v3 offset:32768
	ds_read_b128 a[152:155], v3 offset:32784
	;; [unrolled: 1-line block ×3, first 2 shown]
	; sched_group_barrier mask(0x00000008) size(1) SyncID(0)
	; sched_group_barrier mask(0x00000100) size(2) SyncID(0)
	v_mfma_f64_16x16x4_f64 a[24:31], v[118:119], a[106:107], a[24:31]
	ds_read_b128 a[104:107], v9 offset:49168
	v_mfma_f64_16x16x4_f64 a[16:23], v[174:175], v[222:223], a[16:23]
	ds_read_b128 v[172:175], v8 offset:16384
	ds_read_b128 v[220:223], v9 offset:57344
	v_mfma_f64_16x16x4_f64 a[56:63], v[224:225], v[120:121], a[56:63]
	ds_read_b128 a[108:111], v3 offset:40976
	ds_read_b128 a[196:199], v3 offset:40960
	; sched_group_barrier mask(0x00000008) size(1) SyncID(0)
	; sched_group_barrier mask(0x00000100) size(2) SyncID(0)
	v_mfma_f64_16x16x4_f64 a[16:23], v[116:117], v[164:165], a[16:23]
	v_mfma_f64_16x16x4_f64 a[56:63], v[226:227], v[122:123], a[56:63]
	ds_read_b128 a[180:183], v3 offset:49168
	ds_read_b128 a[204:207], v3 offset:49152
	;; [unrolled: 1-line block ×3, first 2 shown]
	; sched_group_barrier mask(0x00000008) size(1) SyncID(0)
	; sched_group_barrier mask(0x00000100) size(2) SyncID(0)
	v_mfma_f64_16x16x4_f64 a[48:55], v[252:253], a[76:77], a[48:55]
	ds_read_b128 a[72:75], v3 offset:57360
	ds_read_b128 a[128:131], v3 offset:57344
	; sched_group_barrier mask(0x00000008) size(1) SyncID(0)
	; sched_group_barrier mask(0x00000100) size(2) SyncID(0)
	v_mfma_f64_16x16x4_f64 a[16:23], v[118:119], v[166:167], a[16:23]
	ds_read_b128 v[116:119], v8 offset:16400
	ds_read_b128 v[164:167], v9 offset:57360
	v_mfma_f64_16x16x4_f64 a[48:55], v[254:255], a[78:79], a[48:55]
	ds_read_b128 v[252:255], v8
	ds_read_b128 a[76:79], v9 offset:40960
	; sched_group_barrier mask(0x00000008) size(1) SyncID(0)
	v_mfma_f64_16x16x4_f64 a[48:55], v[224:225], v[124:125], a[48:55]
	v_mfma_f64_16x16x4_f64 a[48:55], v[226:227], v[126:127], a[48:55]
	ds_read_b128 v[224:227], v8 offset:16
	ds_read_b128 v[124:127], v9 offset:40976
	; sched_barrier mask(0x00000000)
	s_add_i32 s15, s15, -1
	s_nop 8
	v_accvgpr_read_b32 v25, a17
	v_accvgpr_read_b32 v24, a16
	v_accvgpr_read_b32 v27, a19
	v_accvgpr_read_b32 v26, a18
	v_accvgpr_read_b32 v29, a21
	v_accvgpr_read_b32 v28, a20
	v_accvgpr_read_b32 v31, a23
	v_accvgpr_read_b32 v30, a22
	v_accvgpr_read_b32 v33, a25
	v_accvgpr_read_b32 v32, a24
	v_accvgpr_read_b32 v35, a27
	v_accvgpr_read_b32 v34, a26
	v_accvgpr_read_b32 v37, a29
	v_accvgpr_read_b32 v36, a28
	v_accvgpr_read_b32 v39, a31
	v_accvgpr_read_b32 v38, a30
	v_accvgpr_read_b32 v41, a9
	v_accvgpr_read_b32 v40, a8
	v_accvgpr_read_b32 v43, a11
	v_accvgpr_read_b32 v42, a10
	v_accvgpr_read_b32 v45, a13
	v_accvgpr_read_b32 v44, a12
	v_accvgpr_read_b32 v47, a15
	v_accvgpr_read_b32 v46, a14
	v_accvgpr_read_b32 v49, a1
	v_accvgpr_read_b32 v48, a0
	v_accvgpr_read_b32 v51, a3
	v_accvgpr_read_b32 v50, a2
	v_accvgpr_read_b32 v53, a5
	v_accvgpr_read_b32 v52, a4
	v_accvgpr_read_b32 v55, a7
	v_accvgpr_read_b32 v54, a6
	v_accvgpr_read_b32 v57, a33
	v_accvgpr_read_b32 v56, a32
	v_accvgpr_read_b32 v59, a35
	v_accvgpr_read_b32 v58, a34
	v_accvgpr_read_b32 v61, a37
	v_accvgpr_read_b32 v60, a36
	v_accvgpr_read_b32 v63, a39
	v_accvgpr_read_b32 v62, a38
	v_accvgpr_read_b32 v65, a41
	v_accvgpr_read_b32 v64, a40
	v_accvgpr_read_b32 v67, a43
	v_accvgpr_read_b32 v66, a42
	v_accvgpr_read_b32 v69, a45
	v_accvgpr_read_b32 v68, a44
	v_accvgpr_read_b32 v71, a47
	v_accvgpr_read_b32 v70, a46
	v_accvgpr_read_b32 v73, a49
	v_accvgpr_read_b32 v72, a48
	v_accvgpr_read_b32 v75, a51
	v_accvgpr_read_b32 v74, a50
	v_accvgpr_read_b32 v77, a53
	v_accvgpr_read_b32 v76, a52
	v_accvgpr_read_b32 v79, a55
	v_accvgpr_read_b32 v78, a54
	v_accvgpr_read_b32 v87, a57
	v_accvgpr_read_b32 v86, a56
	v_accvgpr_read_b32 v89, a59
	v_accvgpr_read_b32 v88, a58
	v_accvgpr_read_b32 v91, a61
	v_accvgpr_read_b32 v90, a60
	v_accvgpr_read_b32 v93, a63
	v_accvgpr_read_b32 v92, a62
	v_add_u32_e32 v15, 0x200, v15
	v_add_u32_e32 v16, 0x200, v16
	;; [unrolled: 1-line block ×4, first 2 shown]
	s_cmp_lg_u32 s15, 0
	v_add_u32_e32 v20, 0x200, v20
	s_cbranch_scc1 .LBB2_11
; %bb.12:
	s_waitcnt lgkmcnt(14)
	v_mfma_f64_16x16x4_f64 a[56:63], a[192:193], a[200:201], a[56:63]
	s_lshl_b64 s[0:1], s[10:11], 3
	s_add_u32 s24, s8, s0
	s_addc_u32 s2, s9, s1
	s_mul_i32 s0, s12, s21
	s_mul_hi_u32 s1, 0, s21
	s_add_i32 s3, s1, s0
	s_waitcnt lgkmcnt(0)
	s_barrier
	s_and_b32 s25, s2, 0xffff
	s_mov_b32 s27, 0x20000
	v_bfe_u32 v1, v0, 4, 2
	v_lshlrev_b32_e32 v0, 3, v0
	v_and_b32_e32 v11, 24, v0
	v_or_b32_e32 v10, s14, v11
	v_lshl_or_b32 v14, s13, 6, v82
	v_and_or_b32 v4, v82, 16, v1
	v_mad_u64_u32 v[0:1], s[0:1], v14, s21, v[10:11]
	s_add_i32 s0, s17, s3
	s_lshl_b32 s26, s0, 3
	v_lshlrev_b32_e32 v1, 3, v83
	v_lshl_or_b32 v1, v4, 8, v1
	v_add_u32_e32 v15, 0x800, v1
	v_cmp_gt_i32_e32 vcc, s17, v10
	v_cmp_gt_i32_e64 s[6:7], s16, v14
	s_and_b64 s[0:1], s[6:7], vcc
	v_bfrev_b32_e32 v17, 1
	v_or_b32_e32 v18, 32, v10
	v_add_u32_e32 v19, 32, v0
	v_mfma_f64_16x16x4_f64 a[48:55], a[192:193], a[196:197], a[48:55]
	v_mfma_f64_16x16x4_f64 a[56:63], a[194:195], a[202:203], a[56:63]
	v_mfma_f64_16x16x4_f64 a[40:47], a[192:193], a[204:205], a[40:47]
	v_mfma_f64_16x16x4_f64 a[32:39], a[192:193], a[128:129], a[32:39]
	v_mfma_f64_16x16x4_f64 a[24:31], v[216:217], a[204:205], a[24:31]
	v_mfma_f64_16x16x4_f64 a[16:23], v[216:217], a[128:129], a[16:23]
	v_mfma_f64_16x16x4_f64 a[0:7], v[216:217], a[200:201], a[0:7]
	v_mfma_f64_16x16x4_f64 a[8:15], v[216:217], a[196:197], a[8:15]
	v_mfma_f64_16x16x4_f64 a[48:55], a[194:195], a[198:199], a[48:55]
	v_mfma_f64_16x16x4_f64 a[56:63], a[172:173], a[152:153], a[56:63]
	v_mfma_f64_16x16x4_f64 a[40:47], a[194:195], a[206:207], a[40:47]
	v_mfma_f64_16x16x4_f64 a[32:39], a[194:195], a[130:131], a[32:39]
	v_mfma_f64_16x16x4_f64 a[24:31], v[218:219], a[206:207], a[24:31]
	v_mfma_f64_16x16x4_f64 a[16:23], v[218:219], a[130:131], a[16:23]
	v_mfma_f64_16x16x4_f64 a[0:7], v[218:219], a[202:203], a[0:7]
	v_mfma_f64_16x16x4_f64 a[8:15], v[218:219], a[198:199], a[8:15]
	v_mfma_f64_16x16x4_f64 a[48:55], a[172:173], a[108:109], a[48:55]
	v_mfma_f64_16x16x4_f64 a[56:63], a[174:175], a[154:155], a[56:63]
	v_mfma_f64_16x16x4_f64 a[40:47], a[172:173], a[180:181], a[40:47]
	v_mfma_f64_16x16x4_f64 a[32:39], a[172:173], a[72:73], a[32:39]
	v_mfma_f64_16x16x4_f64 a[24:31], v[204:205], a[180:181], a[24:31]
	v_mfma_f64_16x16x4_f64 a[16:23], v[204:205], a[72:73], a[16:23]
	v_mfma_f64_16x16x4_f64 a[0:7], v[204:205], a[152:153], a[0:7]
	v_mfma_f64_16x16x4_f64 a[8:15], v[204:205], a[108:109], a[8:15]
	v_mfma_f64_16x16x4_f64 a[48:55], a[174:175], a[110:111], a[48:55]
	v_mfma_f64_16x16x4_f64 a[56:63], a[120:121], a[144:145], a[56:63]
	v_mfma_f64_16x16x4_f64 a[40:47], a[174:175], a[182:183], a[40:47]
	v_mfma_f64_16x16x4_f64 a[32:39], a[174:175], a[74:75], a[32:39]
	v_mfma_f64_16x16x4_f64 a[24:31], v[206:207], a[182:183], a[24:31]
	v_mfma_f64_16x16x4_f64 a[16:23], v[206:207], a[74:75], a[16:23]
	v_mfma_f64_16x16x4_f64 a[0:7], v[206:207], a[154:155], a[0:7]
	v_mfma_f64_16x16x4_f64 a[8:15], v[206:207], a[110:111], a[8:15]
	v_mfma_f64_16x16x4_f64 a[48:55], a[120:121], a[148:149], a[48:55]
	v_mfma_f64_16x16x4_f64 a[56:63], a[122:123], a[146:147], a[56:63]
	v_mfma_f64_16x16x4_f64 a[40:47], a[120:121], a[164:165], a[40:47]
	v_mfma_f64_16x16x4_f64 a[32:39], a[120:121], a[96:97], a[32:39]
	v_mfma_f64_16x16x4_f64 a[24:31], v[208:209], a[164:165], a[24:31]
	v_mfma_f64_16x16x4_f64 a[16:23], v[208:209], a[96:97], a[16:23]
	v_mfma_f64_16x16x4_f64 a[0:7], v[208:209], a[144:145], a[0:7]
	v_mfma_f64_16x16x4_f64 a[8:15], v[208:209], a[148:149], a[8:15]
	v_mfma_f64_16x16x4_f64 a[48:55], a[122:123], a[150:151], a[48:55]
	v_mfma_f64_16x16x4_f64 a[56:63], a[80:81], a[68:69], a[56:63]
	v_mfma_f64_16x16x4_f64 a[40:47], a[122:123], a[166:167], a[40:47]
	v_mfma_f64_16x16x4_f64 a[32:39], a[122:123], a[98:99], a[32:39]
	v_mfma_f64_16x16x4_f64 a[24:31], v[210:211], a[166:167], a[24:31]
	v_mfma_f64_16x16x4_f64 a[16:23], v[210:211], a[98:99], a[16:23]
	v_mfma_f64_16x16x4_f64 a[0:7], v[210:211], a[146:147], a[0:7]
	v_mfma_f64_16x16x4_f64 a[8:15], v[210:211], a[150:151], a[8:15]
	v_mfma_f64_16x16x4_f64 a[48:55], a[80:81], v[232:233], a[48:55]
	v_mfma_f64_16x16x4_f64 a[56:63], a[82:83], a[70:71], a[56:63]
	v_mfma_f64_16x16x4_f64 a[40:47], a[80:81], a[156:157], a[40:47]
	v_mfma_f64_16x16x4_f64 a[32:39], a[80:81], v[244:245], a[32:39]
	v_mfma_f64_16x16x4_f64 a[24:31], v[188:189], a[156:157], a[24:31]
	v_mfma_f64_16x16x4_f64 a[16:23], v[188:189], v[244:245], a[16:23]
	v_mfma_f64_16x16x4_f64 a[0:7], v[188:189], a[68:69], a[0:7]
	v_mfma_f64_16x16x4_f64 a[8:15], v[188:189], v[232:233], a[8:15]
	v_mfma_f64_16x16x4_f64 a[48:55], a[82:83], v[234:235], a[48:55]
	v_mfma_f64_16x16x4_f64 a[56:63], a[84:85], a[124:125], a[56:63]
	v_mfma_f64_16x16x4_f64 a[40:47], a[82:83], a[158:159], a[40:47]
	v_mfma_f64_16x16x4_f64 a[32:39], a[82:83], v[246:247], a[32:39]
	v_mfma_f64_16x16x4_f64 a[24:31], v[190:191], a[158:159], a[24:31]
	v_mfma_f64_16x16x4_f64 a[16:23], v[190:191], v[246:247], a[16:23]
	v_mfma_f64_16x16x4_f64 a[0:7], v[190:191], a[70:71], a[0:7]
	v_mfma_f64_16x16x4_f64 a[8:15], v[190:191], v[234:235], a[8:15]
	v_mfma_f64_16x16x4_f64 a[48:55], a[84:85], a[132:133], a[48:55]
	v_mfma_f64_16x16x4_f64 a[56:63], a[86:87], a[126:127], a[56:63]
	v_mfma_f64_16x16x4_f64 a[40:47], a[84:85], a[160:161], a[40:47]
	v_mfma_f64_16x16x4_f64 a[32:39], a[84:85], a[64:65], a[32:39]
	v_mfma_f64_16x16x4_f64 a[24:31], v[192:193], a[160:161], a[24:31]
	v_mfma_f64_16x16x4_f64 a[16:23], v[192:193], a[64:65], a[16:23]
	v_mfma_f64_16x16x4_f64 a[0:7], v[192:193], a[124:125], a[0:7]
	v_mfma_f64_16x16x4_f64 a[8:15], v[192:193], a[132:133], a[8:15]
	v_mfma_f64_16x16x4_f64 a[48:55], a[86:87], a[134:135], a[48:55]
	v_mfma_f64_16x16x4_f64 a[56:63], v[248:249], v[240:241], a[56:63]
	v_mfma_f64_16x16x4_f64 a[40:47], a[86:87], a[162:163], a[40:47]
	v_mfma_f64_16x16x4_f64 a[32:39], a[86:87], a[66:67], a[32:39]
	v_mfma_f64_16x16x4_f64 a[24:31], v[194:195], a[162:163], a[24:31]
	v_mfma_f64_16x16x4_f64 a[16:23], v[194:195], a[66:67], a[16:23]
	v_mfma_f64_16x16x4_f64 a[0:7], v[194:195], a[126:127], a[0:7]
	v_mfma_f64_16x16x4_f64 a[8:15], v[194:195], a[134:135], a[8:15]
	v_mfma_f64_16x16x4_f64 a[48:55], v[248:249], v[212:213], a[48:55]
	v_mfma_f64_16x16x4_f64 a[56:63], v[250:251], v[242:243], a[56:63]
	v_mfma_f64_16x16x4_f64 a[40:47], v[248:249], a[136:137], a[40:47]
	v_mfma_f64_16x16x4_f64 a[32:39], v[248:249], v[228:229], a[32:39]
	v_mfma_f64_16x16x4_f64 a[24:31], v[176:177], a[136:137], a[24:31]
	v_mfma_f64_16x16x4_f64 a[16:23], v[176:177], v[228:229], a[16:23]
	v_mfma_f64_16x16x4_f64 a[0:7], v[176:177], v[240:241], a[0:7]
	v_mfma_f64_16x16x4_f64 a[8:15], v[176:177], v[212:213], a[8:15]
	v_mfma_f64_16x16x4_f64 a[48:55], v[250:251], v[214:215], a[48:55]
	v_mfma_f64_16x16x4_f64 a[56:63], v[252:253], a[88:89], a[56:63]
	v_mfma_f64_16x16x4_f64 a[40:47], v[250:251], a[138:139], a[40:47]
	v_mfma_f64_16x16x4_f64 a[32:39], v[250:251], v[230:231], a[32:39]
	v_mfma_f64_16x16x4_f64 a[24:31], v[178:179], a[138:139], a[24:31]
	v_mfma_f64_16x16x4_f64 a[16:23], v[178:179], v[230:231], a[16:23]
	v_mfma_f64_16x16x4_f64 a[0:7], v[178:179], v[242:243], a[0:7]
	v_mfma_f64_16x16x4_f64 a[8:15], v[178:179], v[214:215], a[8:15]
	v_mfma_f64_16x16x4_f64 a[48:55], v[252:253], a[76:77], a[48:55]
	v_mfma_f64_16x16x4_f64 a[56:63], v[254:255], a[90:91], a[56:63]
	v_mfma_f64_16x16x4_f64 a[40:47], v[252:253], a[140:141], a[40:47]
	v_mfma_f64_16x16x4_f64 a[32:39], v[252:253], v[220:221], a[32:39]
	v_mfma_f64_16x16x4_f64 a[24:31], v[172:173], a[140:141], a[24:31]
	v_mfma_f64_16x16x4_f64 a[16:23], v[172:173], v[220:221], a[16:23]
	v_mfma_f64_16x16x4_f64 a[0:7], v[172:173], a[88:89], a[0:7]
	v_mfma_f64_16x16x4_f64 a[8:15], v[172:173], a[76:77], a[8:15]
	v_mfma_f64_16x16x4_f64 a[48:55], v[254:255], a[78:79], a[48:55]
	v_mfma_f64_16x16x4_f64 a[56:63], v[224:225], v[120:121], a[56:63]
	v_mfma_f64_16x16x4_f64 a[40:47], v[254:255], a[142:143], a[40:47]
	v_mfma_f64_16x16x4_f64 a[32:39], v[254:255], v[222:223], a[32:39]
	v_mfma_f64_16x16x4_f64 a[24:31], v[174:175], a[142:143], a[24:31]
	v_mfma_f64_16x16x4_f64 a[16:23], v[174:175], v[222:223], a[16:23]
	v_mfma_f64_16x16x4_f64 a[0:7], v[174:175], a[90:91], a[0:7]
	v_mfma_f64_16x16x4_f64 a[8:15], v[174:175], a[78:79], a[8:15]
	v_mfma_f64_16x16x4_f64 a[48:55], v[224:225], v[124:125], a[48:55]
	v_mfma_f64_16x16x4_f64 a[56:63], v[226:227], v[122:123], a[56:63]
	v_mfma_f64_16x16x4_f64 a[40:47], v[224:225], a[104:105], a[40:47]
	v_mfma_f64_16x16x4_f64 a[32:39], v[224:225], v[164:165], a[32:39]
	v_mfma_f64_16x16x4_f64 a[24:31], v[116:117], a[104:105], a[24:31]
	v_mfma_f64_16x16x4_f64 a[16:23], v[116:117], v[164:165], a[16:23]
	v_mfma_f64_16x16x4_f64 a[0:7], v[116:117], v[120:121], a[0:7]
	v_mfma_f64_16x16x4_f64 a[8:15], v[116:117], v[124:125], a[8:15]
	v_mfma_f64_16x16x4_f64 a[48:55], v[226:227], v[126:127], a[48:55]
	v_mfma_f64_16x16x4_f64 a[40:47], v[226:227], a[106:107], a[40:47]
	v_mfma_f64_16x16x4_f64 a[32:39], v[226:227], v[166:167], a[32:39]
	v_mfma_f64_16x16x4_f64 a[24:31], v[118:119], a[106:107], a[24:31]
	s_nop 8
	v_accvgpr_read_b32 v9, a63
	v_accvgpr_read_b32 v8, a62
	;; [unrolled: 1-line block ×8, first 2 shown]
	v_mfma_f64_16x16x4_f64 a[16:23], v[118:119], v[166:167], a[16:23]
	v_mfma_f64_16x16x4_f64 a[0:7], v[118:119], v[122:123], a[0:7]
	;; [unrolled: 1-line block ×3, first 2 shown]
	v_accvgpr_read_b32 v13, a55
	v_accvgpr_read_b32 v12, a54
	ds_write2_b64 v15, v[8:9], v[12:13] offset0:128 offset1:144
	v_accvgpr_read_b32 v9, a53
	v_accvgpr_read_b32 v8, a52
	ds_write2_b64 v15, v[6:7], v[8:9] offset1:16
	v_accvgpr_read_b32 v7, a51
	v_accvgpr_read_b32 v6, a50
	ds_write2_b64 v1, v[4:5], v[6:7] offset0:128 offset1:144
	v_accvgpr_read_b32 v5, a49
	v_accvgpr_read_b32 v4, a48
	ds_write2_b64 v1, v[2:3], v[4:5] offset1:16
	s_waitcnt lgkmcnt(0)
	s_barrier
	v_lshlrev_b32_e32 v2, 3, v11
	v_lshl_or_b32 v16, v82, 8, v2
	ds_read_b128 v[2:5], v16
	v_lshlrev_b32_e32 v11, 3, v0
	v_cndmask_b32_e64 v6, v17, 0, s[0:1]
	v_add_u32_e32 v12, v6, v11
	ds_read_b128 v[6:9], v16 offset:16
	s_waitcnt lgkmcnt(1)
	buffer_store_dwordx4 v[2:5], v12, s[24:27], 0 offen
	v_accvgpr_read_b32 v13, a39
	s_nop 0
	v_or_b32_e32 v2, 2, v10
	v_cmp_gt_i32_e64 s[2:3], s17, v2
	s_and_b64 s[0:1], s[6:7], s[2:3]
	v_cndmask_b32_e64 v2, v17, 0, s[0:1]
	v_add_u32_e32 v2, v11, v2
	s_waitcnt lgkmcnt(0)
	buffer_store_dwordx4 v[6:9], v2, s[24:27], 0 offen offset:16
	ds_read_b128 v[2:5], v16 offset:32
	s_nop 0
	v_or_b32_e32 v6, 4, v10
	v_cmp_gt_i32_e64 s[0:1], s17, v6
	s_and_b64 s[4:5], s[6:7], s[0:1]
	v_cndmask_b32_e64 v6, v17, 0, s[4:5]
	v_add_u32_e32 v12, v11, v6
	ds_read_b128 v[6:9], v16 offset:48
	s_waitcnt lgkmcnt(1)
	buffer_store_dwordx4 v[2:5], v12, s[24:27], 0 offen offset:32
	v_accvgpr_read_b32 v12, a38
	s_nop 0
	v_or_b32_e32 v2, 6, v10
	v_cmp_gt_i32_e64 s[4:5], s17, v2
	s_and_b64 s[8:9], s[6:7], s[4:5]
	v_cndmask_b32_e64 v2, v17, 0, s[8:9]
	v_add_u32_e32 v2, v11, v2
	s_waitcnt lgkmcnt(0)
	buffer_store_dwordx4 v[6:9], v2, s[24:27], 0 offen offset:48
	s_waitcnt lgkmcnt(0)
	s_barrier
	v_accvgpr_read_b32 v9, a47
	v_accvgpr_read_b32 v8, a46
	ds_write2_b64 v15, v[8:9], v[12:13] offset0:128 offset1:144
	v_accvgpr_read_b32 v7, a45
	v_accvgpr_read_b32 v6, a44
	;; [unrolled: 1-line block ×4, first 2 shown]
	ds_write2_b64 v15, v[6:7], v[8:9] offset1:16
	v_accvgpr_read_b32 v5, a43
	v_accvgpr_read_b32 v4, a42
	;; [unrolled: 1-line block ×4, first 2 shown]
	ds_write2_b64 v1, v[4:5], v[6:7] offset0:128 offset1:144
	v_accvgpr_read_b32 v3, a41
	v_accvgpr_read_b32 v2, a40
	;; [unrolled: 1-line block ×4, first 2 shown]
	ds_write2_b64 v1, v[2:3], v[4:5] offset1:16
	s_waitcnt lgkmcnt(0)
	s_barrier
	ds_read_b128 v[2:5], v16
	v_cmp_gt_i32_e64 s[8:9], s17, v18
	s_and_b64 s[10:11], s[6:7], s[8:9]
	v_cndmask_b32_e64 v6, v17, 0, s[10:11]
	v_lshl_add_u32 v12, v19, 3, v6
	ds_read_b128 v[6:9], v16 offset:16
	s_waitcnt lgkmcnt(1)
	buffer_store_dwordx4 v[2:5], v12, s[24:27], 0 offen
	s_nop 1
	v_or_b32_e32 v2, 34, v10
	v_cmp_gt_i32_e64 s[10:11], s17, v2
	s_and_b64 s[12:13], s[6:7], s[10:11]
	v_cndmask_b32_e64 v2, v17, 0, s[12:13]
	v_add_u32_e32 v2, v11, v2
	s_waitcnt lgkmcnt(0)
	buffer_store_dwordx4 v[6:9], v2, s[24:27], 0 offen offset:272
	ds_read_b128 v[2:5], v16 offset:32
	s_nop 0
	v_or_b32_e32 v6, 36, v10
	v_cmp_gt_i32_e64 s[12:13], s17, v6
	s_and_b64 s[14:15], s[6:7], s[12:13]
	v_cndmask_b32_e64 v6, v17, 0, s[14:15]
	v_add_u32_e32 v12, v11, v6
	ds_read_b128 v[6:9], v16 offset:48
	s_waitcnt lgkmcnt(1)
	buffer_store_dwordx4 v[2:5], v12, s[24:27], 0 offen offset:288
	s_nop 1
	v_or_b32_e32 v2, 38, v10
	v_cmp_gt_i32_e64 s[14:15], s17, v2
	s_and_b64 s[6:7], s[6:7], s[14:15]
	s_lshl_b32 s17, s21, 5
	v_cndmask_b32_e64 v2, v17, 0, s[6:7]
	v_add_u32_e32 v2, v11, v2
	s_waitcnt lgkmcnt(0)
	buffer_store_dwordx4 v[6:9], v2, s[24:27], 0 offen offset:304
	s_waitcnt lgkmcnt(0)
	s_barrier
	v_accvgpr_read_b32 v9, a31
	v_accvgpr_read_b32 v8, a30
	;; [unrolled: 1-line block ×4, first 2 shown]
	ds_write2_b64 v15, v[8:9], v[10:11] offset0:128 offset1:144
	v_accvgpr_read_b32 v7, a29
	v_accvgpr_read_b32 v6, a28
	;; [unrolled: 1-line block ×4, first 2 shown]
	ds_write2_b64 v15, v[6:7], v[8:9] offset1:16
	v_accvgpr_read_b32 v5, a27
	v_accvgpr_read_b32 v4, a26
	;; [unrolled: 1-line block ×4, first 2 shown]
	ds_write2_b64 v1, v[4:5], v[6:7] offset0:128 offset1:144
	v_accvgpr_read_b32 v3, a25
	v_accvgpr_read_b32 v2, a24
	;; [unrolled: 1-line block ×4, first 2 shown]
	ds_write2_b64 v1, v[2:3], v[4:5] offset1:16
	s_waitcnt lgkmcnt(0)
	s_barrier
	ds_read_b128 v[2:5], v16
	v_or_b32_e32 v6, 32, v14
	v_cmp_gt_i32_e64 s[6:7], s16, v6
	s_and_b64 s[8:9], s[6:7], s[8:9]
	s_and_b64 s[2:3], s[6:7], s[2:3]
	;; [unrolled: 1-line block ×3, first 2 shown]
	v_add_lshl_u32 v10, v19, s17, 3
	v_cndmask_b32_e64 v6, v17, 0, s[8:9]
	s_and_b64 s[8:9], s[6:7], s[10:11]
	v_add_u32_e32 v11, v10, v6
	ds_read_b128 v[6:9], v16 offset:16
	s_waitcnt lgkmcnt(1)
	buffer_store_dwordx4 v[2:5], v11, s[24:27], 0 offen
	v_mov_b32_e32 v11, 0x80000020
	s_nop 0
	v_mov_b32_e32 v2, 0x80000010
	v_cndmask_b32_e64 v2, v2, 16, s[8:9]
	s_and_b64 s[8:9], s[6:7], s[12:13]
	v_add_u32_e32 v2, v10, v2
	s_waitcnt lgkmcnt(0)
	buffer_store_dwordx4 v[6:9], v2, s[24:27], 0 offen
	ds_read_b128 v[2:5], v16 offset:32
	ds_read_b128 v[6:9], v16 offset:48
	v_cndmask_b32_e64 v11, v11, 32, s[8:9]
	s_and_b64 s[8:9], s[6:7], s[14:15]
	v_add_u32_e32 v11, v10, v11
	s_waitcnt lgkmcnt(1)
	buffer_store_dwordx4 v[2:5], v11, s[24:27], 0 offen
	s_nop 1
	v_mov_b32_e32 v2, 0x80000030
	v_cndmask_b32_e64 v2, v2, 48, s[8:9]
	s_and_b64 s[8:9], vcc, s[6:7]
	v_add_u32_e32 v2, v10, v2
	s_waitcnt lgkmcnt(0)
	buffer_store_dwordx4 v[6:9], v2, s[24:27], 0 offen
	s_waitcnt lgkmcnt(0)
	s_barrier
	v_accvgpr_read_b32 v3, a7
	v_accvgpr_read_b32 v2, a6
	;; [unrolled: 1-line block ×4, first 2 shown]
	ds_write2_b64 v15, v[2:3], v[4:5] offset0:128 offset1:144
	v_accvgpr_read_b32 v3, a5
	v_accvgpr_read_b32 v2, a4
	;; [unrolled: 1-line block ×4, first 2 shown]
	ds_write2_b64 v15, v[2:3], v[4:5] offset1:16
	v_accvgpr_read_b32 v3, a3
	v_accvgpr_read_b32 v2, a2
	;; [unrolled: 1-line block ×4, first 2 shown]
	ds_write2_b64 v1, v[2:3], v[4:5] offset0:128 offset1:144
	v_accvgpr_read_b32 v3, a1
	v_accvgpr_read_b32 v2, a0
	;; [unrolled: 1-line block ×4, first 2 shown]
	ds_write2_b64 v1, v[2:3], v[4:5] offset1:16
	s_waitcnt lgkmcnt(0)
	s_barrier
	ds_read_b128 v[2:5], v16
	ds_read_b128 v[6:9], v16 offset:16
	v_add_lshl_u32 v10, v0, s17, 3
	v_cndmask_b32_e64 v0, v17, 0, s[8:9]
	v_add_u32_e32 v0, v0, v10
	s_waitcnt lgkmcnt(1)
	buffer_store_dwordx4 v[2:5], v0, s[24:27], 0 offen
	v_cndmask_b32_e64 v0, v17, 0, s[2:3]
	v_add_u32_e32 v0, v10, v0
	s_waitcnt lgkmcnt(0)
	buffer_store_dwordx4 v[6:9], v0, s[24:27], 0 offen offset:16
	ds_read_b128 v[0:3], v16 offset:32
	ds_read_b128 v[4:7], v16 offset:48
	v_cndmask_b32_e64 v8, v17, 0, s[0:1]
	s_and_b64 s[0:1], s[6:7], s[4:5]
	v_add_u32_e32 v8, v10, v8
	s_waitcnt lgkmcnt(1)
	buffer_store_dwordx4 v[0:3], v8, s[24:27], 0 offen offset:32
	s_nop 1
	v_cndmask_b32_e64 v0, v17, 0, s[0:1]
	v_add_u32_e32 v0, v10, v0
	s_waitcnt lgkmcnt(0)
	buffer_store_dwordx4 v[4:7], v0, s[24:27], 0 offen offset:48
	s_endpgm
	.section	.rodata,"a",@progbits
	.p2align	6, 0x0
	.amdhsa_kernel _ZN2ck27kernel_gemm_xdl_cshuffle_v3INS_28GridwiseGemm_xdl_cshuffle_v3INS_13tensor_layout4gemm8RowMajorENS3_11ColumnMajorES4_dddddNS_16tensor_operation12element_wise11PassThroughES8_S8_LNS6_6device18GemmSpecializationE0ELi128ELi64ELi64ELi64ELi4ELi4ELi16ELi16ELi2ELi4ENS_8SequenceIJLi4ELi32ELi1EEEENSB_IJLi1ELi0ELi2EEEESD_Li2ELi2ELi2ELb0ELi0ESC_SD_SD_Li2ELi2ELi2ELb0ELi0ELi1ELi2ENSB_IJLi1ELi32ELi1ELi4EEEELi2ELNS_26BlockGemmPipelineSchedulerE0ELNS_24BlockGemmPipelineVersionE2EddLb0ELb0ELb0ELi0ELb0EEELb1ELNS_25InMemoryDataOperationEnumE0ELi2ELNS_10TailNumberE10EEEvNT_8ArgumentE
		.amdhsa_group_segment_fixed_size 65536
		.amdhsa_private_segment_fixed_size 0
		.amdhsa_kernarg_size 112
		.amdhsa_user_sgpr_count 2
		.amdhsa_user_sgpr_dispatch_ptr 0
		.amdhsa_user_sgpr_queue_ptr 0
		.amdhsa_user_sgpr_kernarg_segment_ptr 1
		.amdhsa_user_sgpr_dispatch_id 0
		.amdhsa_user_sgpr_kernarg_preload_length 0
		.amdhsa_user_sgpr_kernarg_preload_offset 0
		.amdhsa_user_sgpr_private_segment_size 0
		.amdhsa_uses_dynamic_stack 0
		.amdhsa_enable_private_segment 0
		.amdhsa_system_sgpr_workgroup_id_x 1
		.amdhsa_system_sgpr_workgroup_id_y 0
		.amdhsa_system_sgpr_workgroup_id_z 1
		.amdhsa_system_sgpr_workgroup_info 0
		.amdhsa_system_vgpr_workitem_id 0
		.amdhsa_next_free_vgpr 480
		.amdhsa_next_free_sgpr 96
		.amdhsa_accum_offset 256
		.amdhsa_reserve_vcc 1
		.amdhsa_float_round_mode_32 0
		.amdhsa_float_round_mode_16_64 0
		.amdhsa_float_denorm_mode_32 3
		.amdhsa_float_denorm_mode_16_64 3
		.amdhsa_dx10_clamp 1
		.amdhsa_ieee_mode 1
		.amdhsa_fp16_overflow 0
		.amdhsa_tg_split 0
		.amdhsa_exception_fp_ieee_invalid_op 0
		.amdhsa_exception_fp_denorm_src 0
		.amdhsa_exception_fp_ieee_div_zero 0
		.amdhsa_exception_fp_ieee_overflow 0
		.amdhsa_exception_fp_ieee_underflow 0
		.amdhsa_exception_fp_ieee_inexact 0
		.amdhsa_exception_int_div_zero 0
	.end_amdhsa_kernel
	.section	.text._ZN2ck27kernel_gemm_xdl_cshuffle_v3INS_28GridwiseGemm_xdl_cshuffle_v3INS_13tensor_layout4gemm8RowMajorENS3_11ColumnMajorES4_dddddNS_16tensor_operation12element_wise11PassThroughES8_S8_LNS6_6device18GemmSpecializationE0ELi128ELi64ELi64ELi64ELi4ELi4ELi16ELi16ELi2ELi4ENS_8SequenceIJLi4ELi32ELi1EEEENSB_IJLi1ELi0ELi2EEEESD_Li2ELi2ELi2ELb0ELi0ESC_SD_SD_Li2ELi2ELi2ELb0ELi0ELi1ELi2ENSB_IJLi1ELi32ELi1ELi4EEEELi2ELNS_26BlockGemmPipelineSchedulerE0ELNS_24BlockGemmPipelineVersionE2EddLb0ELb0ELb0ELi0ELb0EEELb1ELNS_25InMemoryDataOperationEnumE0ELi2ELNS_10TailNumberE10EEEvNT_8ArgumentE,"axG",@progbits,_ZN2ck27kernel_gemm_xdl_cshuffle_v3INS_28GridwiseGemm_xdl_cshuffle_v3INS_13tensor_layout4gemm8RowMajorENS3_11ColumnMajorES4_dddddNS_16tensor_operation12element_wise11PassThroughES8_S8_LNS6_6device18GemmSpecializationE0ELi128ELi64ELi64ELi64ELi4ELi4ELi16ELi16ELi2ELi4ENS_8SequenceIJLi4ELi32ELi1EEEENSB_IJLi1ELi0ELi2EEEESD_Li2ELi2ELi2ELb0ELi0ESC_SD_SD_Li2ELi2ELi2ELb0ELi0ELi1ELi2ENSB_IJLi1ELi32ELi1ELi4EEEELi2ELNS_26BlockGemmPipelineSchedulerE0ELNS_24BlockGemmPipelineVersionE2EddLb0ELb0ELb0ELi0ELb0EEELb1ELNS_25InMemoryDataOperationEnumE0ELi2ELNS_10TailNumberE10EEEvNT_8ArgumentE,comdat
.Lfunc_end2:
	.size	_ZN2ck27kernel_gemm_xdl_cshuffle_v3INS_28GridwiseGemm_xdl_cshuffle_v3INS_13tensor_layout4gemm8RowMajorENS3_11ColumnMajorES4_dddddNS_16tensor_operation12element_wise11PassThroughES8_S8_LNS6_6device18GemmSpecializationE0ELi128ELi64ELi64ELi64ELi4ELi4ELi16ELi16ELi2ELi4ENS_8SequenceIJLi4ELi32ELi1EEEENSB_IJLi1ELi0ELi2EEEESD_Li2ELi2ELi2ELb0ELi0ESC_SD_SD_Li2ELi2ELi2ELb0ELi0ELi1ELi2ENSB_IJLi1ELi32ELi1ELi4EEEELi2ELNS_26BlockGemmPipelineSchedulerE0ELNS_24BlockGemmPipelineVersionE2EddLb0ELb0ELb0ELi0ELb0EEELb1ELNS_25InMemoryDataOperationEnumE0ELi2ELNS_10TailNumberE10EEEvNT_8ArgumentE, .Lfunc_end2-_ZN2ck27kernel_gemm_xdl_cshuffle_v3INS_28GridwiseGemm_xdl_cshuffle_v3INS_13tensor_layout4gemm8RowMajorENS3_11ColumnMajorES4_dddddNS_16tensor_operation12element_wise11PassThroughES8_S8_LNS6_6device18GemmSpecializationE0ELi128ELi64ELi64ELi64ELi4ELi4ELi16ELi16ELi2ELi4ENS_8SequenceIJLi4ELi32ELi1EEEENSB_IJLi1ELi0ELi2EEEESD_Li2ELi2ELi2ELb0ELi0ESC_SD_SD_Li2ELi2ELi2ELb0ELi0ELi1ELi2ENSB_IJLi1ELi32ELi1ELi4EEEELi2ELNS_26BlockGemmPipelineSchedulerE0ELNS_24BlockGemmPipelineVersionE2EddLb0ELb0ELb0ELi0ELb0EEELb1ELNS_25InMemoryDataOperationEnumE0ELi2ELNS_10TailNumberE10EEEvNT_8ArgumentE
                                        ; -- End function
	.set _ZN2ck27kernel_gemm_xdl_cshuffle_v3INS_28GridwiseGemm_xdl_cshuffle_v3INS_13tensor_layout4gemm8RowMajorENS3_11ColumnMajorES4_dddddNS_16tensor_operation12element_wise11PassThroughES8_S8_LNS6_6device18GemmSpecializationE0ELi128ELi64ELi64ELi64ELi4ELi4ELi16ELi16ELi2ELi4ENS_8SequenceIJLi4ELi32ELi1EEEENSB_IJLi1ELi0ELi2EEEESD_Li2ELi2ELi2ELb0ELi0ESC_SD_SD_Li2ELi2ELi2ELb0ELi0ELi1ELi2ENSB_IJLi1ELi32ELi1ELi4EEEELi2ELNS_26BlockGemmPipelineSchedulerE0ELNS_24BlockGemmPipelineVersionE2EddLb0ELb0ELb0ELi0ELb0EEELb1ELNS_25InMemoryDataOperationEnumE0ELi2ELNS_10TailNumberE10EEEvNT_8ArgumentE.num_vgpr, 256
	.set _ZN2ck27kernel_gemm_xdl_cshuffle_v3INS_28GridwiseGemm_xdl_cshuffle_v3INS_13tensor_layout4gemm8RowMajorENS3_11ColumnMajorES4_dddddNS_16tensor_operation12element_wise11PassThroughES8_S8_LNS6_6device18GemmSpecializationE0ELi128ELi64ELi64ELi64ELi4ELi4ELi16ELi16ELi2ELi4ENS_8SequenceIJLi4ELi32ELi1EEEENSB_IJLi1ELi0ELi2EEEESD_Li2ELi2ELi2ELb0ELi0ESC_SD_SD_Li2ELi2ELi2ELb0ELi0ELi1ELi2ENSB_IJLi1ELi32ELi1ELi4EEEELi2ELNS_26BlockGemmPipelineSchedulerE0ELNS_24BlockGemmPipelineVersionE2EddLb0ELb0ELb0ELi0ELb0EEELb1ELNS_25InMemoryDataOperationEnumE0ELi2ELNS_10TailNumberE10EEEvNT_8ArgumentE.num_agpr, 224
	.set _ZN2ck27kernel_gemm_xdl_cshuffle_v3INS_28GridwiseGemm_xdl_cshuffle_v3INS_13tensor_layout4gemm8RowMajorENS3_11ColumnMajorES4_dddddNS_16tensor_operation12element_wise11PassThroughES8_S8_LNS6_6device18GemmSpecializationE0ELi128ELi64ELi64ELi64ELi4ELi4ELi16ELi16ELi2ELi4ENS_8SequenceIJLi4ELi32ELi1EEEENSB_IJLi1ELi0ELi2EEEESD_Li2ELi2ELi2ELb0ELi0ESC_SD_SD_Li2ELi2ELi2ELb0ELi0ELi1ELi2ENSB_IJLi1ELi32ELi1ELi4EEEELi2ELNS_26BlockGemmPipelineSchedulerE0ELNS_24BlockGemmPipelineVersionE2EddLb0ELb0ELb0ELi0ELb0EEELb1ELNS_25InMemoryDataOperationEnumE0ELi2ELNS_10TailNumberE10EEEvNT_8ArgumentE.numbered_sgpr, 29
	.set _ZN2ck27kernel_gemm_xdl_cshuffle_v3INS_28GridwiseGemm_xdl_cshuffle_v3INS_13tensor_layout4gemm8RowMajorENS3_11ColumnMajorES4_dddddNS_16tensor_operation12element_wise11PassThroughES8_S8_LNS6_6device18GemmSpecializationE0ELi128ELi64ELi64ELi64ELi4ELi4ELi16ELi16ELi2ELi4ENS_8SequenceIJLi4ELi32ELi1EEEENSB_IJLi1ELi0ELi2EEEESD_Li2ELi2ELi2ELb0ELi0ESC_SD_SD_Li2ELi2ELi2ELb0ELi0ELi1ELi2ENSB_IJLi1ELi32ELi1ELi4EEEELi2ELNS_26BlockGemmPipelineSchedulerE0ELNS_24BlockGemmPipelineVersionE2EddLb0ELb0ELb0ELi0ELb0EEELb1ELNS_25InMemoryDataOperationEnumE0ELi2ELNS_10TailNumberE10EEEvNT_8ArgumentE.num_named_barrier, 0
	.set _ZN2ck27kernel_gemm_xdl_cshuffle_v3INS_28GridwiseGemm_xdl_cshuffle_v3INS_13tensor_layout4gemm8RowMajorENS3_11ColumnMajorES4_dddddNS_16tensor_operation12element_wise11PassThroughES8_S8_LNS6_6device18GemmSpecializationE0ELi128ELi64ELi64ELi64ELi4ELi4ELi16ELi16ELi2ELi4ENS_8SequenceIJLi4ELi32ELi1EEEENSB_IJLi1ELi0ELi2EEEESD_Li2ELi2ELi2ELb0ELi0ESC_SD_SD_Li2ELi2ELi2ELb0ELi0ELi1ELi2ENSB_IJLi1ELi32ELi1ELi4EEEELi2ELNS_26BlockGemmPipelineSchedulerE0ELNS_24BlockGemmPipelineVersionE2EddLb0ELb0ELb0ELi0ELb0EEELb1ELNS_25InMemoryDataOperationEnumE0ELi2ELNS_10TailNumberE10EEEvNT_8ArgumentE.private_seg_size, 0
	.set _ZN2ck27kernel_gemm_xdl_cshuffle_v3INS_28GridwiseGemm_xdl_cshuffle_v3INS_13tensor_layout4gemm8RowMajorENS3_11ColumnMajorES4_dddddNS_16tensor_operation12element_wise11PassThroughES8_S8_LNS6_6device18GemmSpecializationE0ELi128ELi64ELi64ELi64ELi4ELi4ELi16ELi16ELi2ELi4ENS_8SequenceIJLi4ELi32ELi1EEEENSB_IJLi1ELi0ELi2EEEESD_Li2ELi2ELi2ELb0ELi0ESC_SD_SD_Li2ELi2ELi2ELb0ELi0ELi1ELi2ENSB_IJLi1ELi32ELi1ELi4EEEELi2ELNS_26BlockGemmPipelineSchedulerE0ELNS_24BlockGemmPipelineVersionE2EddLb0ELb0ELb0ELi0ELb0EEELb1ELNS_25InMemoryDataOperationEnumE0ELi2ELNS_10TailNumberE10EEEvNT_8ArgumentE.uses_vcc, 1
	.set _ZN2ck27kernel_gemm_xdl_cshuffle_v3INS_28GridwiseGemm_xdl_cshuffle_v3INS_13tensor_layout4gemm8RowMajorENS3_11ColumnMajorES4_dddddNS_16tensor_operation12element_wise11PassThroughES8_S8_LNS6_6device18GemmSpecializationE0ELi128ELi64ELi64ELi64ELi4ELi4ELi16ELi16ELi2ELi4ENS_8SequenceIJLi4ELi32ELi1EEEENSB_IJLi1ELi0ELi2EEEESD_Li2ELi2ELi2ELb0ELi0ESC_SD_SD_Li2ELi2ELi2ELb0ELi0ELi1ELi2ENSB_IJLi1ELi32ELi1ELi4EEEELi2ELNS_26BlockGemmPipelineSchedulerE0ELNS_24BlockGemmPipelineVersionE2EddLb0ELb0ELb0ELi0ELb0EEELb1ELNS_25InMemoryDataOperationEnumE0ELi2ELNS_10TailNumberE10EEEvNT_8ArgumentE.uses_flat_scratch, 0
	.set _ZN2ck27kernel_gemm_xdl_cshuffle_v3INS_28GridwiseGemm_xdl_cshuffle_v3INS_13tensor_layout4gemm8RowMajorENS3_11ColumnMajorES4_dddddNS_16tensor_operation12element_wise11PassThroughES8_S8_LNS6_6device18GemmSpecializationE0ELi128ELi64ELi64ELi64ELi4ELi4ELi16ELi16ELi2ELi4ENS_8SequenceIJLi4ELi32ELi1EEEENSB_IJLi1ELi0ELi2EEEESD_Li2ELi2ELi2ELb0ELi0ESC_SD_SD_Li2ELi2ELi2ELb0ELi0ELi1ELi2ENSB_IJLi1ELi32ELi1ELi4EEEELi2ELNS_26BlockGemmPipelineSchedulerE0ELNS_24BlockGemmPipelineVersionE2EddLb0ELb0ELb0ELi0ELb0EEELb1ELNS_25InMemoryDataOperationEnumE0ELi2ELNS_10TailNumberE10EEEvNT_8ArgumentE.has_dyn_sized_stack, 0
	.set _ZN2ck27kernel_gemm_xdl_cshuffle_v3INS_28GridwiseGemm_xdl_cshuffle_v3INS_13tensor_layout4gemm8RowMajorENS3_11ColumnMajorES4_dddddNS_16tensor_operation12element_wise11PassThroughES8_S8_LNS6_6device18GemmSpecializationE0ELi128ELi64ELi64ELi64ELi4ELi4ELi16ELi16ELi2ELi4ENS_8SequenceIJLi4ELi32ELi1EEEENSB_IJLi1ELi0ELi2EEEESD_Li2ELi2ELi2ELb0ELi0ESC_SD_SD_Li2ELi2ELi2ELb0ELi0ELi1ELi2ENSB_IJLi1ELi32ELi1ELi4EEEELi2ELNS_26BlockGemmPipelineSchedulerE0ELNS_24BlockGemmPipelineVersionE2EddLb0ELb0ELb0ELi0ELb0EEELb1ELNS_25InMemoryDataOperationEnumE0ELi2ELNS_10TailNumberE10EEEvNT_8ArgumentE.has_recursion, 0
	.set _ZN2ck27kernel_gemm_xdl_cshuffle_v3INS_28GridwiseGemm_xdl_cshuffle_v3INS_13tensor_layout4gemm8RowMajorENS3_11ColumnMajorES4_dddddNS_16tensor_operation12element_wise11PassThroughES8_S8_LNS6_6device18GemmSpecializationE0ELi128ELi64ELi64ELi64ELi4ELi4ELi16ELi16ELi2ELi4ENS_8SequenceIJLi4ELi32ELi1EEEENSB_IJLi1ELi0ELi2EEEESD_Li2ELi2ELi2ELb0ELi0ESC_SD_SD_Li2ELi2ELi2ELb0ELi0ELi1ELi2ENSB_IJLi1ELi32ELi1ELi4EEEELi2ELNS_26BlockGemmPipelineSchedulerE0ELNS_24BlockGemmPipelineVersionE2EddLb0ELb0ELb0ELi0ELb0EEELb1ELNS_25InMemoryDataOperationEnumE0ELi2ELNS_10TailNumberE10EEEvNT_8ArgumentE.has_indirect_call, 0
	.section	.AMDGPU.csdata,"",@progbits
; Kernel info:
; codeLenInByte = 8844
; TotalNumSgprs: 35
; NumVgprs: 256
; NumAgprs: 224
; TotalNumVgprs: 480
; ScratchSize: 0
; MemoryBound: 0
; FloatMode: 240
; IeeeMode: 1
; LDSByteSize: 65536 bytes/workgroup (compile time only)
; SGPRBlocks: 12
; VGPRBlocks: 59
; NumSGPRsForWavesPerEU: 102
; NumVGPRsForWavesPerEU: 480
; AccumOffset: 256
; Occupancy: 1
; WaveLimiterHint : 0
; COMPUTE_PGM_RSRC2:SCRATCH_EN: 0
; COMPUTE_PGM_RSRC2:USER_SGPR: 2
; COMPUTE_PGM_RSRC2:TRAP_HANDLER: 0
; COMPUTE_PGM_RSRC2:TGID_X_EN: 1
; COMPUTE_PGM_RSRC2:TGID_Y_EN: 0
; COMPUTE_PGM_RSRC2:TGID_Z_EN: 1
; COMPUTE_PGM_RSRC2:TIDIG_COMP_CNT: 0
; COMPUTE_PGM_RSRC3_GFX90A:ACCUM_OFFSET: 63
; COMPUTE_PGM_RSRC3_GFX90A:TG_SPLIT: 0
	.section	.text._ZN2ck27kernel_gemm_xdl_cshuffle_v3INS_28GridwiseGemm_xdl_cshuffle_v3INS_13tensor_layout4gemm8RowMajorENS3_11ColumnMajorES4_dddddNS_16tensor_operation12element_wise11PassThroughES8_S8_LNS6_6device18GemmSpecializationE0ELi128ELi64ELi64ELi64ELi4ELi4ELi16ELi16ELi2ELi2ENS_8SequenceIJLi4ELi32ELi1EEEENSB_IJLi1ELi0ELi2EEEESD_Li2ELi2ELi2ELb0ELi0ESC_SD_SD_Li2ELi2ELi2ELb0ELi0ELi1ELi2ENSB_IJLi1ELi32ELi1ELi4EEEELi2ELNS_26BlockGemmPipelineSchedulerE0ELNS_24BlockGemmPipelineVersionE2EddLb0ELb0ELb0ELi0ELb0EEELb1ELNS_25InMemoryDataOperationEnumE1ELi2ELNS_10TailNumberE10EEEvNT_8ArgumentE,"axG",@progbits,_ZN2ck27kernel_gemm_xdl_cshuffle_v3INS_28GridwiseGemm_xdl_cshuffle_v3INS_13tensor_layout4gemm8RowMajorENS3_11ColumnMajorES4_dddddNS_16tensor_operation12element_wise11PassThroughES8_S8_LNS6_6device18GemmSpecializationE0ELi128ELi64ELi64ELi64ELi4ELi4ELi16ELi16ELi2ELi2ENS_8SequenceIJLi4ELi32ELi1EEEENSB_IJLi1ELi0ELi2EEEESD_Li2ELi2ELi2ELb0ELi0ESC_SD_SD_Li2ELi2ELi2ELb0ELi0ELi1ELi2ENSB_IJLi1ELi32ELi1ELi4EEEELi2ELNS_26BlockGemmPipelineSchedulerE0ELNS_24BlockGemmPipelineVersionE2EddLb0ELb0ELb0ELi0ELb0EEELb1ELNS_25InMemoryDataOperationEnumE1ELi2ELNS_10TailNumberE10EEEvNT_8ArgumentE,comdat
	.protected	_ZN2ck27kernel_gemm_xdl_cshuffle_v3INS_28GridwiseGemm_xdl_cshuffle_v3INS_13tensor_layout4gemm8RowMajorENS3_11ColumnMajorES4_dddddNS_16tensor_operation12element_wise11PassThroughES8_S8_LNS6_6device18GemmSpecializationE0ELi128ELi64ELi64ELi64ELi4ELi4ELi16ELi16ELi2ELi2ENS_8SequenceIJLi4ELi32ELi1EEEENSB_IJLi1ELi0ELi2EEEESD_Li2ELi2ELi2ELb0ELi0ESC_SD_SD_Li2ELi2ELi2ELb0ELi0ELi1ELi2ENSB_IJLi1ELi32ELi1ELi4EEEELi2ELNS_26BlockGemmPipelineSchedulerE0ELNS_24BlockGemmPipelineVersionE2EddLb0ELb0ELb0ELi0ELb0EEELb1ELNS_25InMemoryDataOperationEnumE1ELi2ELNS_10TailNumberE10EEEvNT_8ArgumentE ; -- Begin function _ZN2ck27kernel_gemm_xdl_cshuffle_v3INS_28GridwiseGemm_xdl_cshuffle_v3INS_13tensor_layout4gemm8RowMajorENS3_11ColumnMajorES4_dddddNS_16tensor_operation12element_wise11PassThroughES8_S8_LNS6_6device18GemmSpecializationE0ELi128ELi64ELi64ELi64ELi4ELi4ELi16ELi16ELi2ELi2ENS_8SequenceIJLi4ELi32ELi1EEEENSB_IJLi1ELi0ELi2EEEESD_Li2ELi2ELi2ELb0ELi0ESC_SD_SD_Li2ELi2ELi2ELb0ELi0ELi1ELi2ENSB_IJLi1ELi32ELi1ELi4EEEELi2ELNS_26BlockGemmPipelineSchedulerE0ELNS_24BlockGemmPipelineVersionE2EddLb0ELb0ELb0ELi0ELb0EEELb1ELNS_25InMemoryDataOperationEnumE1ELi2ELNS_10TailNumberE10EEEvNT_8ArgumentE
	.globl	_ZN2ck27kernel_gemm_xdl_cshuffle_v3INS_28GridwiseGemm_xdl_cshuffle_v3INS_13tensor_layout4gemm8RowMajorENS3_11ColumnMajorES4_dddddNS_16tensor_operation12element_wise11PassThroughES8_S8_LNS6_6device18GemmSpecializationE0ELi128ELi64ELi64ELi64ELi4ELi4ELi16ELi16ELi2ELi2ENS_8SequenceIJLi4ELi32ELi1EEEENSB_IJLi1ELi0ELi2EEEESD_Li2ELi2ELi2ELb0ELi0ESC_SD_SD_Li2ELi2ELi2ELb0ELi0ELi1ELi2ENSB_IJLi1ELi32ELi1ELi4EEEELi2ELNS_26BlockGemmPipelineSchedulerE0ELNS_24BlockGemmPipelineVersionE2EddLb0ELb0ELb0ELi0ELb0EEELb1ELNS_25InMemoryDataOperationEnumE1ELi2ELNS_10TailNumberE10EEEvNT_8ArgumentE
	.p2align	8
	.type	_ZN2ck27kernel_gemm_xdl_cshuffle_v3INS_28GridwiseGemm_xdl_cshuffle_v3INS_13tensor_layout4gemm8RowMajorENS3_11ColumnMajorES4_dddddNS_16tensor_operation12element_wise11PassThroughES8_S8_LNS6_6device18GemmSpecializationE0ELi128ELi64ELi64ELi64ELi4ELi4ELi16ELi16ELi2ELi2ENS_8SequenceIJLi4ELi32ELi1EEEENSB_IJLi1ELi0ELi2EEEESD_Li2ELi2ELi2ELb0ELi0ESC_SD_SD_Li2ELi2ELi2ELb0ELi0ELi1ELi2ENSB_IJLi1ELi32ELi1ELi4EEEELi2ELNS_26BlockGemmPipelineSchedulerE0ELNS_24BlockGemmPipelineVersionE2EddLb0ELb0ELb0ELi0ELb0EEELb1ELNS_25InMemoryDataOperationEnumE1ELi2ELNS_10TailNumberE10EEEvNT_8ArgumentE,@function
_ZN2ck27kernel_gemm_xdl_cshuffle_v3INS_28GridwiseGemm_xdl_cshuffle_v3INS_13tensor_layout4gemm8RowMajorENS3_11ColumnMajorES4_dddddNS_16tensor_operation12element_wise11PassThroughES8_S8_LNS6_6device18GemmSpecializationE0ELi128ELi64ELi64ELi64ELi4ELi4ELi16ELi16ELi2ELi2ENS_8SequenceIJLi4ELi32ELi1EEEENSB_IJLi1ELi0ELi2EEEESD_Li2ELi2ELi2ELb0ELi0ESC_SD_SD_Li2ELi2ELi2ELb0ELi0ELi1ELi2ENSB_IJLi1ELi32ELi1ELi4EEEELi2ELNS_26BlockGemmPipelineSchedulerE0ELNS_24BlockGemmPipelineVersionE2EddLb0ELb0ELb0ELi0ELb0EEELb1ELNS_25InMemoryDataOperationEnumE1ELi2ELNS_10TailNumberE10EEEvNT_8ArgumentE: ; @_ZN2ck27kernel_gemm_xdl_cshuffle_v3INS_28GridwiseGemm_xdl_cshuffle_v3INS_13tensor_layout4gemm8RowMajorENS3_11ColumnMajorES4_dddddNS_16tensor_operation12element_wise11PassThroughES8_S8_LNS6_6device18GemmSpecializationE0ELi128ELi64ELi64ELi64ELi4ELi4ELi16ELi16ELi2ELi2ENS_8SequenceIJLi4ELi32ELi1EEEENSB_IJLi1ELi0ELi2EEEESD_Li2ELi2ELi2ELb0ELi0ESC_SD_SD_Li2ELi2ELi2ELb0ELi0ELi1ELi2ENSB_IJLi1ELi32ELi1ELi4EEEELi2ELNS_26BlockGemmPipelineSchedulerE0ELNS_24BlockGemmPipelineVersionE2EddLb0ELb0ELb0ELi0ELb0EEELb1ELNS_25InMemoryDataOperationEnumE1ELi2ELNS_10TailNumberE10EEEvNT_8ArgumentE
; %bb.0:
	s_endpgm
	.section	.rodata,"a",@progbits
	.p2align	6, 0x0
	.amdhsa_kernel _ZN2ck27kernel_gemm_xdl_cshuffle_v3INS_28GridwiseGemm_xdl_cshuffle_v3INS_13tensor_layout4gemm8RowMajorENS3_11ColumnMajorES4_dddddNS_16tensor_operation12element_wise11PassThroughES8_S8_LNS6_6device18GemmSpecializationE0ELi128ELi64ELi64ELi64ELi4ELi4ELi16ELi16ELi2ELi2ENS_8SequenceIJLi4ELi32ELi1EEEENSB_IJLi1ELi0ELi2EEEESD_Li2ELi2ELi2ELb0ELi0ESC_SD_SD_Li2ELi2ELi2ELb0ELi0ELi1ELi2ENSB_IJLi1ELi32ELi1ELi4EEEELi2ELNS_26BlockGemmPipelineSchedulerE0ELNS_24BlockGemmPipelineVersionE2EddLb0ELb0ELb0ELi0ELb0EEELb1ELNS_25InMemoryDataOperationEnumE1ELi2ELNS_10TailNumberE10EEEvNT_8ArgumentE
		.amdhsa_group_segment_fixed_size 0
		.amdhsa_private_segment_fixed_size 0
		.amdhsa_kernarg_size 112
		.amdhsa_user_sgpr_count 2
		.amdhsa_user_sgpr_dispatch_ptr 0
		.amdhsa_user_sgpr_queue_ptr 0
		.amdhsa_user_sgpr_kernarg_segment_ptr 1
		.amdhsa_user_sgpr_dispatch_id 0
		.amdhsa_user_sgpr_kernarg_preload_length 0
		.amdhsa_user_sgpr_kernarg_preload_offset 0
		.amdhsa_user_sgpr_private_segment_size 0
		.amdhsa_uses_dynamic_stack 0
		.amdhsa_enable_private_segment 0
		.amdhsa_system_sgpr_workgroup_id_x 1
		.amdhsa_system_sgpr_workgroup_id_y 0
		.amdhsa_system_sgpr_workgroup_id_z 0
		.amdhsa_system_sgpr_workgroup_info 0
		.amdhsa_system_vgpr_workitem_id 0
		.amdhsa_next_free_vgpr 1
		.amdhsa_next_free_sgpr 0
		.amdhsa_accum_offset 4
		.amdhsa_reserve_vcc 0
		.amdhsa_float_round_mode_32 0
		.amdhsa_float_round_mode_16_64 0
		.amdhsa_float_denorm_mode_32 3
		.amdhsa_float_denorm_mode_16_64 3
		.amdhsa_dx10_clamp 1
		.amdhsa_ieee_mode 1
		.amdhsa_fp16_overflow 0
		.amdhsa_tg_split 0
		.amdhsa_exception_fp_ieee_invalid_op 0
		.amdhsa_exception_fp_denorm_src 0
		.amdhsa_exception_fp_ieee_div_zero 0
		.amdhsa_exception_fp_ieee_overflow 0
		.amdhsa_exception_fp_ieee_underflow 0
		.amdhsa_exception_fp_ieee_inexact 0
		.amdhsa_exception_int_div_zero 0
	.end_amdhsa_kernel
	.section	.text._ZN2ck27kernel_gemm_xdl_cshuffle_v3INS_28GridwiseGemm_xdl_cshuffle_v3INS_13tensor_layout4gemm8RowMajorENS3_11ColumnMajorES4_dddddNS_16tensor_operation12element_wise11PassThroughES8_S8_LNS6_6device18GemmSpecializationE0ELi128ELi64ELi64ELi64ELi4ELi4ELi16ELi16ELi2ELi2ENS_8SequenceIJLi4ELi32ELi1EEEENSB_IJLi1ELi0ELi2EEEESD_Li2ELi2ELi2ELb0ELi0ESC_SD_SD_Li2ELi2ELi2ELb0ELi0ELi1ELi2ENSB_IJLi1ELi32ELi1ELi4EEEELi2ELNS_26BlockGemmPipelineSchedulerE0ELNS_24BlockGemmPipelineVersionE2EddLb0ELb0ELb0ELi0ELb0EEELb1ELNS_25InMemoryDataOperationEnumE1ELi2ELNS_10TailNumberE10EEEvNT_8ArgumentE,"axG",@progbits,_ZN2ck27kernel_gemm_xdl_cshuffle_v3INS_28GridwiseGemm_xdl_cshuffle_v3INS_13tensor_layout4gemm8RowMajorENS3_11ColumnMajorES4_dddddNS_16tensor_operation12element_wise11PassThroughES8_S8_LNS6_6device18GemmSpecializationE0ELi128ELi64ELi64ELi64ELi4ELi4ELi16ELi16ELi2ELi2ENS_8SequenceIJLi4ELi32ELi1EEEENSB_IJLi1ELi0ELi2EEEESD_Li2ELi2ELi2ELb0ELi0ESC_SD_SD_Li2ELi2ELi2ELb0ELi0ELi1ELi2ENSB_IJLi1ELi32ELi1ELi4EEEELi2ELNS_26BlockGemmPipelineSchedulerE0ELNS_24BlockGemmPipelineVersionE2EddLb0ELb0ELb0ELi0ELb0EEELb1ELNS_25InMemoryDataOperationEnumE1ELi2ELNS_10TailNumberE10EEEvNT_8ArgumentE,comdat
.Lfunc_end3:
	.size	_ZN2ck27kernel_gemm_xdl_cshuffle_v3INS_28GridwiseGemm_xdl_cshuffle_v3INS_13tensor_layout4gemm8RowMajorENS3_11ColumnMajorES4_dddddNS_16tensor_operation12element_wise11PassThroughES8_S8_LNS6_6device18GemmSpecializationE0ELi128ELi64ELi64ELi64ELi4ELi4ELi16ELi16ELi2ELi2ENS_8SequenceIJLi4ELi32ELi1EEEENSB_IJLi1ELi0ELi2EEEESD_Li2ELi2ELi2ELb0ELi0ESC_SD_SD_Li2ELi2ELi2ELb0ELi0ELi1ELi2ENSB_IJLi1ELi32ELi1ELi4EEEELi2ELNS_26BlockGemmPipelineSchedulerE0ELNS_24BlockGemmPipelineVersionE2EddLb0ELb0ELb0ELi0ELb0EEELb1ELNS_25InMemoryDataOperationEnumE1ELi2ELNS_10TailNumberE10EEEvNT_8ArgumentE, .Lfunc_end3-_ZN2ck27kernel_gemm_xdl_cshuffle_v3INS_28GridwiseGemm_xdl_cshuffle_v3INS_13tensor_layout4gemm8RowMajorENS3_11ColumnMajorES4_dddddNS_16tensor_operation12element_wise11PassThroughES8_S8_LNS6_6device18GemmSpecializationE0ELi128ELi64ELi64ELi64ELi4ELi4ELi16ELi16ELi2ELi2ENS_8SequenceIJLi4ELi32ELi1EEEENSB_IJLi1ELi0ELi2EEEESD_Li2ELi2ELi2ELb0ELi0ESC_SD_SD_Li2ELi2ELi2ELb0ELi0ELi1ELi2ENSB_IJLi1ELi32ELi1ELi4EEEELi2ELNS_26BlockGemmPipelineSchedulerE0ELNS_24BlockGemmPipelineVersionE2EddLb0ELb0ELb0ELi0ELb0EEELb1ELNS_25InMemoryDataOperationEnumE1ELi2ELNS_10TailNumberE10EEEvNT_8ArgumentE
                                        ; -- End function
	.set _ZN2ck27kernel_gemm_xdl_cshuffle_v3INS_28GridwiseGemm_xdl_cshuffle_v3INS_13tensor_layout4gemm8RowMajorENS3_11ColumnMajorES4_dddddNS_16tensor_operation12element_wise11PassThroughES8_S8_LNS6_6device18GemmSpecializationE0ELi128ELi64ELi64ELi64ELi4ELi4ELi16ELi16ELi2ELi2ENS_8SequenceIJLi4ELi32ELi1EEEENSB_IJLi1ELi0ELi2EEEESD_Li2ELi2ELi2ELb0ELi0ESC_SD_SD_Li2ELi2ELi2ELb0ELi0ELi1ELi2ENSB_IJLi1ELi32ELi1ELi4EEEELi2ELNS_26BlockGemmPipelineSchedulerE0ELNS_24BlockGemmPipelineVersionE2EddLb0ELb0ELb0ELi0ELb0EEELb1ELNS_25InMemoryDataOperationEnumE1ELi2ELNS_10TailNumberE10EEEvNT_8ArgumentE.num_vgpr, 0
	.set _ZN2ck27kernel_gemm_xdl_cshuffle_v3INS_28GridwiseGemm_xdl_cshuffle_v3INS_13tensor_layout4gemm8RowMajorENS3_11ColumnMajorES4_dddddNS_16tensor_operation12element_wise11PassThroughES8_S8_LNS6_6device18GemmSpecializationE0ELi128ELi64ELi64ELi64ELi4ELi4ELi16ELi16ELi2ELi2ENS_8SequenceIJLi4ELi32ELi1EEEENSB_IJLi1ELi0ELi2EEEESD_Li2ELi2ELi2ELb0ELi0ESC_SD_SD_Li2ELi2ELi2ELb0ELi0ELi1ELi2ENSB_IJLi1ELi32ELi1ELi4EEEELi2ELNS_26BlockGemmPipelineSchedulerE0ELNS_24BlockGemmPipelineVersionE2EddLb0ELb0ELb0ELi0ELb0EEELb1ELNS_25InMemoryDataOperationEnumE1ELi2ELNS_10TailNumberE10EEEvNT_8ArgumentE.num_agpr, 0
	.set _ZN2ck27kernel_gemm_xdl_cshuffle_v3INS_28GridwiseGemm_xdl_cshuffle_v3INS_13tensor_layout4gemm8RowMajorENS3_11ColumnMajorES4_dddddNS_16tensor_operation12element_wise11PassThroughES8_S8_LNS6_6device18GemmSpecializationE0ELi128ELi64ELi64ELi64ELi4ELi4ELi16ELi16ELi2ELi2ENS_8SequenceIJLi4ELi32ELi1EEEENSB_IJLi1ELi0ELi2EEEESD_Li2ELi2ELi2ELb0ELi0ESC_SD_SD_Li2ELi2ELi2ELb0ELi0ELi1ELi2ENSB_IJLi1ELi32ELi1ELi4EEEELi2ELNS_26BlockGemmPipelineSchedulerE0ELNS_24BlockGemmPipelineVersionE2EddLb0ELb0ELb0ELi0ELb0EEELb1ELNS_25InMemoryDataOperationEnumE1ELi2ELNS_10TailNumberE10EEEvNT_8ArgumentE.numbered_sgpr, 0
	.set _ZN2ck27kernel_gemm_xdl_cshuffle_v3INS_28GridwiseGemm_xdl_cshuffle_v3INS_13tensor_layout4gemm8RowMajorENS3_11ColumnMajorES4_dddddNS_16tensor_operation12element_wise11PassThroughES8_S8_LNS6_6device18GemmSpecializationE0ELi128ELi64ELi64ELi64ELi4ELi4ELi16ELi16ELi2ELi2ENS_8SequenceIJLi4ELi32ELi1EEEENSB_IJLi1ELi0ELi2EEEESD_Li2ELi2ELi2ELb0ELi0ESC_SD_SD_Li2ELi2ELi2ELb0ELi0ELi1ELi2ENSB_IJLi1ELi32ELi1ELi4EEEELi2ELNS_26BlockGemmPipelineSchedulerE0ELNS_24BlockGemmPipelineVersionE2EddLb0ELb0ELb0ELi0ELb0EEELb1ELNS_25InMemoryDataOperationEnumE1ELi2ELNS_10TailNumberE10EEEvNT_8ArgumentE.num_named_barrier, 0
	.set _ZN2ck27kernel_gemm_xdl_cshuffle_v3INS_28GridwiseGemm_xdl_cshuffle_v3INS_13tensor_layout4gemm8RowMajorENS3_11ColumnMajorES4_dddddNS_16tensor_operation12element_wise11PassThroughES8_S8_LNS6_6device18GemmSpecializationE0ELi128ELi64ELi64ELi64ELi4ELi4ELi16ELi16ELi2ELi2ENS_8SequenceIJLi4ELi32ELi1EEEENSB_IJLi1ELi0ELi2EEEESD_Li2ELi2ELi2ELb0ELi0ESC_SD_SD_Li2ELi2ELi2ELb0ELi0ELi1ELi2ENSB_IJLi1ELi32ELi1ELi4EEEELi2ELNS_26BlockGemmPipelineSchedulerE0ELNS_24BlockGemmPipelineVersionE2EddLb0ELb0ELb0ELi0ELb0EEELb1ELNS_25InMemoryDataOperationEnumE1ELi2ELNS_10TailNumberE10EEEvNT_8ArgumentE.private_seg_size, 0
	.set _ZN2ck27kernel_gemm_xdl_cshuffle_v3INS_28GridwiseGemm_xdl_cshuffle_v3INS_13tensor_layout4gemm8RowMajorENS3_11ColumnMajorES4_dddddNS_16tensor_operation12element_wise11PassThroughES8_S8_LNS6_6device18GemmSpecializationE0ELi128ELi64ELi64ELi64ELi4ELi4ELi16ELi16ELi2ELi2ENS_8SequenceIJLi4ELi32ELi1EEEENSB_IJLi1ELi0ELi2EEEESD_Li2ELi2ELi2ELb0ELi0ESC_SD_SD_Li2ELi2ELi2ELb0ELi0ELi1ELi2ENSB_IJLi1ELi32ELi1ELi4EEEELi2ELNS_26BlockGemmPipelineSchedulerE0ELNS_24BlockGemmPipelineVersionE2EddLb0ELb0ELb0ELi0ELb0EEELb1ELNS_25InMemoryDataOperationEnumE1ELi2ELNS_10TailNumberE10EEEvNT_8ArgumentE.uses_vcc, 0
	.set _ZN2ck27kernel_gemm_xdl_cshuffle_v3INS_28GridwiseGemm_xdl_cshuffle_v3INS_13tensor_layout4gemm8RowMajorENS3_11ColumnMajorES4_dddddNS_16tensor_operation12element_wise11PassThroughES8_S8_LNS6_6device18GemmSpecializationE0ELi128ELi64ELi64ELi64ELi4ELi4ELi16ELi16ELi2ELi2ENS_8SequenceIJLi4ELi32ELi1EEEENSB_IJLi1ELi0ELi2EEEESD_Li2ELi2ELi2ELb0ELi0ESC_SD_SD_Li2ELi2ELi2ELb0ELi0ELi1ELi2ENSB_IJLi1ELi32ELi1ELi4EEEELi2ELNS_26BlockGemmPipelineSchedulerE0ELNS_24BlockGemmPipelineVersionE2EddLb0ELb0ELb0ELi0ELb0EEELb1ELNS_25InMemoryDataOperationEnumE1ELi2ELNS_10TailNumberE10EEEvNT_8ArgumentE.uses_flat_scratch, 0
	.set _ZN2ck27kernel_gemm_xdl_cshuffle_v3INS_28GridwiseGemm_xdl_cshuffle_v3INS_13tensor_layout4gemm8RowMajorENS3_11ColumnMajorES4_dddddNS_16tensor_operation12element_wise11PassThroughES8_S8_LNS6_6device18GemmSpecializationE0ELi128ELi64ELi64ELi64ELi4ELi4ELi16ELi16ELi2ELi2ENS_8SequenceIJLi4ELi32ELi1EEEENSB_IJLi1ELi0ELi2EEEESD_Li2ELi2ELi2ELb0ELi0ESC_SD_SD_Li2ELi2ELi2ELb0ELi0ELi1ELi2ENSB_IJLi1ELi32ELi1ELi4EEEELi2ELNS_26BlockGemmPipelineSchedulerE0ELNS_24BlockGemmPipelineVersionE2EddLb0ELb0ELb0ELi0ELb0EEELb1ELNS_25InMemoryDataOperationEnumE1ELi2ELNS_10TailNumberE10EEEvNT_8ArgumentE.has_dyn_sized_stack, 0
	.set _ZN2ck27kernel_gemm_xdl_cshuffle_v3INS_28GridwiseGemm_xdl_cshuffle_v3INS_13tensor_layout4gemm8RowMajorENS3_11ColumnMajorES4_dddddNS_16tensor_operation12element_wise11PassThroughES8_S8_LNS6_6device18GemmSpecializationE0ELi128ELi64ELi64ELi64ELi4ELi4ELi16ELi16ELi2ELi2ENS_8SequenceIJLi4ELi32ELi1EEEENSB_IJLi1ELi0ELi2EEEESD_Li2ELi2ELi2ELb0ELi0ESC_SD_SD_Li2ELi2ELi2ELb0ELi0ELi1ELi2ENSB_IJLi1ELi32ELi1ELi4EEEELi2ELNS_26BlockGemmPipelineSchedulerE0ELNS_24BlockGemmPipelineVersionE2EddLb0ELb0ELb0ELi0ELb0EEELb1ELNS_25InMemoryDataOperationEnumE1ELi2ELNS_10TailNumberE10EEEvNT_8ArgumentE.has_recursion, 0
	.set _ZN2ck27kernel_gemm_xdl_cshuffle_v3INS_28GridwiseGemm_xdl_cshuffle_v3INS_13tensor_layout4gemm8RowMajorENS3_11ColumnMajorES4_dddddNS_16tensor_operation12element_wise11PassThroughES8_S8_LNS6_6device18GemmSpecializationE0ELi128ELi64ELi64ELi64ELi4ELi4ELi16ELi16ELi2ELi2ENS_8SequenceIJLi4ELi32ELi1EEEENSB_IJLi1ELi0ELi2EEEESD_Li2ELi2ELi2ELb0ELi0ESC_SD_SD_Li2ELi2ELi2ELb0ELi0ELi1ELi2ENSB_IJLi1ELi32ELi1ELi4EEEELi2ELNS_26BlockGemmPipelineSchedulerE0ELNS_24BlockGemmPipelineVersionE2EddLb0ELb0ELb0ELi0ELb0EEELb1ELNS_25InMemoryDataOperationEnumE1ELi2ELNS_10TailNumberE10EEEvNT_8ArgumentE.has_indirect_call, 0
	.section	.AMDGPU.csdata,"",@progbits
; Kernel info:
; codeLenInByte = 4
; TotalNumSgprs: 6
; NumVgprs: 0
; NumAgprs: 0
; TotalNumVgprs: 0
; ScratchSize: 0
; MemoryBound: 0
; FloatMode: 240
; IeeeMode: 1
; LDSByteSize: 0 bytes/workgroup (compile time only)
; SGPRBlocks: 0
; VGPRBlocks: 0
; NumSGPRsForWavesPerEU: 6
; NumVGPRsForWavesPerEU: 1
; AccumOffset: 4
; Occupancy: 8
; WaveLimiterHint : 0
; COMPUTE_PGM_RSRC2:SCRATCH_EN: 0
; COMPUTE_PGM_RSRC2:USER_SGPR: 2
; COMPUTE_PGM_RSRC2:TRAP_HANDLER: 0
; COMPUTE_PGM_RSRC2:TGID_X_EN: 1
; COMPUTE_PGM_RSRC2:TGID_Y_EN: 0
; COMPUTE_PGM_RSRC2:TGID_Z_EN: 0
; COMPUTE_PGM_RSRC2:TIDIG_COMP_CNT: 0
; COMPUTE_PGM_RSRC3_GFX90A:ACCUM_OFFSET: 0
; COMPUTE_PGM_RSRC3_GFX90A:TG_SPLIT: 0
	.section	.text._ZN2ck27kernel_gemm_xdl_cshuffle_v3INS_28GridwiseGemm_xdl_cshuffle_v3INS_13tensor_layout4gemm8RowMajorENS3_11ColumnMajorES4_dddddNS_16tensor_operation12element_wise11PassThroughES8_S8_LNS6_6device18GemmSpecializationE0ELi128ELi64ELi64ELi64ELi4ELi4ELi16ELi16ELi2ELi2ENS_8SequenceIJLi4ELi32ELi1EEEENSB_IJLi1ELi0ELi2EEEESD_Li2ELi2ELi2ELb0ELi0ESC_SD_SD_Li2ELi2ELi2ELb0ELi0ELi1ELi2ENSB_IJLi1ELi32ELi1ELi4EEEELi2ELNS_26BlockGemmPipelineSchedulerE0ELNS_24BlockGemmPipelineVersionE2EddLb0ELb0ELb0ELi0ELb0EEELb1ELNS_25InMemoryDataOperationEnumE0ELi2ELNS_10TailNumberE10EEEvNT_8ArgumentE,"axG",@progbits,_ZN2ck27kernel_gemm_xdl_cshuffle_v3INS_28GridwiseGemm_xdl_cshuffle_v3INS_13tensor_layout4gemm8RowMajorENS3_11ColumnMajorES4_dddddNS_16tensor_operation12element_wise11PassThroughES8_S8_LNS6_6device18GemmSpecializationE0ELi128ELi64ELi64ELi64ELi4ELi4ELi16ELi16ELi2ELi2ENS_8SequenceIJLi4ELi32ELi1EEEENSB_IJLi1ELi0ELi2EEEESD_Li2ELi2ELi2ELb0ELi0ESC_SD_SD_Li2ELi2ELi2ELb0ELi0ELi1ELi2ENSB_IJLi1ELi32ELi1ELi4EEEELi2ELNS_26BlockGemmPipelineSchedulerE0ELNS_24BlockGemmPipelineVersionE2EddLb0ELb0ELb0ELi0ELb0EEELb1ELNS_25InMemoryDataOperationEnumE0ELi2ELNS_10TailNumberE10EEEvNT_8ArgumentE,comdat
	.protected	_ZN2ck27kernel_gemm_xdl_cshuffle_v3INS_28GridwiseGemm_xdl_cshuffle_v3INS_13tensor_layout4gemm8RowMajorENS3_11ColumnMajorES4_dddddNS_16tensor_operation12element_wise11PassThroughES8_S8_LNS6_6device18GemmSpecializationE0ELi128ELi64ELi64ELi64ELi4ELi4ELi16ELi16ELi2ELi2ENS_8SequenceIJLi4ELi32ELi1EEEENSB_IJLi1ELi0ELi2EEEESD_Li2ELi2ELi2ELb0ELi0ESC_SD_SD_Li2ELi2ELi2ELb0ELi0ELi1ELi2ENSB_IJLi1ELi32ELi1ELi4EEEELi2ELNS_26BlockGemmPipelineSchedulerE0ELNS_24BlockGemmPipelineVersionE2EddLb0ELb0ELb0ELi0ELb0EEELb1ELNS_25InMemoryDataOperationEnumE0ELi2ELNS_10TailNumberE10EEEvNT_8ArgumentE ; -- Begin function _ZN2ck27kernel_gemm_xdl_cshuffle_v3INS_28GridwiseGemm_xdl_cshuffle_v3INS_13tensor_layout4gemm8RowMajorENS3_11ColumnMajorES4_dddddNS_16tensor_operation12element_wise11PassThroughES8_S8_LNS6_6device18GemmSpecializationE0ELi128ELi64ELi64ELi64ELi4ELi4ELi16ELi16ELi2ELi2ENS_8SequenceIJLi4ELi32ELi1EEEENSB_IJLi1ELi0ELi2EEEESD_Li2ELi2ELi2ELb0ELi0ESC_SD_SD_Li2ELi2ELi2ELb0ELi0ELi1ELi2ENSB_IJLi1ELi32ELi1ELi4EEEELi2ELNS_26BlockGemmPipelineSchedulerE0ELNS_24BlockGemmPipelineVersionE2EddLb0ELb0ELb0ELi0ELb0EEELb1ELNS_25InMemoryDataOperationEnumE0ELi2ELNS_10TailNumberE10EEEvNT_8ArgumentE
	.globl	_ZN2ck27kernel_gemm_xdl_cshuffle_v3INS_28GridwiseGemm_xdl_cshuffle_v3INS_13tensor_layout4gemm8RowMajorENS3_11ColumnMajorES4_dddddNS_16tensor_operation12element_wise11PassThroughES8_S8_LNS6_6device18GemmSpecializationE0ELi128ELi64ELi64ELi64ELi4ELi4ELi16ELi16ELi2ELi2ENS_8SequenceIJLi4ELi32ELi1EEEENSB_IJLi1ELi0ELi2EEEESD_Li2ELi2ELi2ELb0ELi0ESC_SD_SD_Li2ELi2ELi2ELb0ELi0ELi1ELi2ENSB_IJLi1ELi32ELi1ELi4EEEELi2ELNS_26BlockGemmPipelineSchedulerE0ELNS_24BlockGemmPipelineVersionE2EddLb0ELb0ELb0ELi0ELb0EEELb1ELNS_25InMemoryDataOperationEnumE0ELi2ELNS_10TailNumberE10EEEvNT_8ArgumentE
	.p2align	8
	.type	_ZN2ck27kernel_gemm_xdl_cshuffle_v3INS_28GridwiseGemm_xdl_cshuffle_v3INS_13tensor_layout4gemm8RowMajorENS3_11ColumnMajorES4_dddddNS_16tensor_operation12element_wise11PassThroughES8_S8_LNS6_6device18GemmSpecializationE0ELi128ELi64ELi64ELi64ELi4ELi4ELi16ELi16ELi2ELi2ENS_8SequenceIJLi4ELi32ELi1EEEENSB_IJLi1ELi0ELi2EEEESD_Li2ELi2ELi2ELb0ELi0ESC_SD_SD_Li2ELi2ELi2ELb0ELi0ELi1ELi2ENSB_IJLi1ELi32ELi1ELi4EEEELi2ELNS_26BlockGemmPipelineSchedulerE0ELNS_24BlockGemmPipelineVersionE2EddLb0ELb0ELb0ELi0ELb0EEELb1ELNS_25InMemoryDataOperationEnumE0ELi2ELNS_10TailNumberE10EEEvNT_8ArgumentE,@function
_ZN2ck27kernel_gemm_xdl_cshuffle_v3INS_28GridwiseGemm_xdl_cshuffle_v3INS_13tensor_layout4gemm8RowMajorENS3_11ColumnMajorES4_dddddNS_16tensor_operation12element_wise11PassThroughES8_S8_LNS6_6device18GemmSpecializationE0ELi128ELi64ELi64ELi64ELi4ELi4ELi16ELi16ELi2ELi2ENS_8SequenceIJLi4ELi32ELi1EEEENSB_IJLi1ELi0ELi2EEEESD_Li2ELi2ELi2ELb0ELi0ESC_SD_SD_Li2ELi2ELi2ELb0ELi0ELi1ELi2ENSB_IJLi1ELi32ELi1ELi4EEEELi2ELNS_26BlockGemmPipelineSchedulerE0ELNS_24BlockGemmPipelineVersionE2EddLb0ELb0ELb0ELi0ELb0EEELb1ELNS_25InMemoryDataOperationEnumE0ELi2ELNS_10TailNumberE10EEEvNT_8ArgumentE: ; @_ZN2ck27kernel_gemm_xdl_cshuffle_v3INS_28GridwiseGemm_xdl_cshuffle_v3INS_13tensor_layout4gemm8RowMajorENS3_11ColumnMajorES4_dddddNS_16tensor_operation12element_wise11PassThroughES8_S8_LNS6_6device18GemmSpecializationE0ELi128ELi64ELi64ELi64ELi4ELi4ELi16ELi16ELi2ELi2ENS_8SequenceIJLi4ELi32ELi1EEEENSB_IJLi1ELi0ELi2EEEESD_Li2ELi2ELi2ELb0ELi0ESC_SD_SD_Li2ELi2ELi2ELb0ELi0ELi1ELi2ENSB_IJLi1ELi32ELi1ELi4EEEELi2ELNS_26BlockGemmPipelineSchedulerE0ELNS_24BlockGemmPipelineVersionE2EddLb0ELb0ELb0ELi0ELb0EEELb1ELNS_25InMemoryDataOperationEnumE0ELi2ELNS_10TailNumberE10EEEvNT_8ArgumentE
; %bb.0:
	s_endpgm
	.section	.rodata,"a",@progbits
	.p2align	6, 0x0
	.amdhsa_kernel _ZN2ck27kernel_gemm_xdl_cshuffle_v3INS_28GridwiseGemm_xdl_cshuffle_v3INS_13tensor_layout4gemm8RowMajorENS3_11ColumnMajorES4_dddddNS_16tensor_operation12element_wise11PassThroughES8_S8_LNS6_6device18GemmSpecializationE0ELi128ELi64ELi64ELi64ELi4ELi4ELi16ELi16ELi2ELi2ENS_8SequenceIJLi4ELi32ELi1EEEENSB_IJLi1ELi0ELi2EEEESD_Li2ELi2ELi2ELb0ELi0ESC_SD_SD_Li2ELi2ELi2ELb0ELi0ELi1ELi2ENSB_IJLi1ELi32ELi1ELi4EEEELi2ELNS_26BlockGemmPipelineSchedulerE0ELNS_24BlockGemmPipelineVersionE2EddLb0ELb0ELb0ELi0ELb0EEELb1ELNS_25InMemoryDataOperationEnumE0ELi2ELNS_10TailNumberE10EEEvNT_8ArgumentE
		.amdhsa_group_segment_fixed_size 0
		.amdhsa_private_segment_fixed_size 0
		.amdhsa_kernarg_size 112
		.amdhsa_user_sgpr_count 2
		.amdhsa_user_sgpr_dispatch_ptr 0
		.amdhsa_user_sgpr_queue_ptr 0
		.amdhsa_user_sgpr_kernarg_segment_ptr 1
		.amdhsa_user_sgpr_dispatch_id 0
		.amdhsa_user_sgpr_kernarg_preload_length 0
		.amdhsa_user_sgpr_kernarg_preload_offset 0
		.amdhsa_user_sgpr_private_segment_size 0
		.amdhsa_uses_dynamic_stack 0
		.amdhsa_enable_private_segment 0
		.amdhsa_system_sgpr_workgroup_id_x 1
		.amdhsa_system_sgpr_workgroup_id_y 0
		.amdhsa_system_sgpr_workgroup_id_z 0
		.amdhsa_system_sgpr_workgroup_info 0
		.amdhsa_system_vgpr_workitem_id 0
		.amdhsa_next_free_vgpr 1
		.amdhsa_next_free_sgpr 0
		.amdhsa_accum_offset 4
		.amdhsa_reserve_vcc 0
		.amdhsa_float_round_mode_32 0
		.amdhsa_float_round_mode_16_64 0
		.amdhsa_float_denorm_mode_32 3
		.amdhsa_float_denorm_mode_16_64 3
		.amdhsa_dx10_clamp 1
		.amdhsa_ieee_mode 1
		.amdhsa_fp16_overflow 0
		.amdhsa_tg_split 0
		.amdhsa_exception_fp_ieee_invalid_op 0
		.amdhsa_exception_fp_denorm_src 0
		.amdhsa_exception_fp_ieee_div_zero 0
		.amdhsa_exception_fp_ieee_overflow 0
		.amdhsa_exception_fp_ieee_underflow 0
		.amdhsa_exception_fp_ieee_inexact 0
		.amdhsa_exception_int_div_zero 0
	.end_amdhsa_kernel
	.section	.text._ZN2ck27kernel_gemm_xdl_cshuffle_v3INS_28GridwiseGemm_xdl_cshuffle_v3INS_13tensor_layout4gemm8RowMajorENS3_11ColumnMajorES4_dddddNS_16tensor_operation12element_wise11PassThroughES8_S8_LNS6_6device18GemmSpecializationE0ELi128ELi64ELi64ELi64ELi4ELi4ELi16ELi16ELi2ELi2ENS_8SequenceIJLi4ELi32ELi1EEEENSB_IJLi1ELi0ELi2EEEESD_Li2ELi2ELi2ELb0ELi0ESC_SD_SD_Li2ELi2ELi2ELb0ELi0ELi1ELi2ENSB_IJLi1ELi32ELi1ELi4EEEELi2ELNS_26BlockGemmPipelineSchedulerE0ELNS_24BlockGemmPipelineVersionE2EddLb0ELb0ELb0ELi0ELb0EEELb1ELNS_25InMemoryDataOperationEnumE0ELi2ELNS_10TailNumberE10EEEvNT_8ArgumentE,"axG",@progbits,_ZN2ck27kernel_gemm_xdl_cshuffle_v3INS_28GridwiseGemm_xdl_cshuffle_v3INS_13tensor_layout4gemm8RowMajorENS3_11ColumnMajorES4_dddddNS_16tensor_operation12element_wise11PassThroughES8_S8_LNS6_6device18GemmSpecializationE0ELi128ELi64ELi64ELi64ELi4ELi4ELi16ELi16ELi2ELi2ENS_8SequenceIJLi4ELi32ELi1EEEENSB_IJLi1ELi0ELi2EEEESD_Li2ELi2ELi2ELb0ELi0ESC_SD_SD_Li2ELi2ELi2ELb0ELi0ELi1ELi2ENSB_IJLi1ELi32ELi1ELi4EEEELi2ELNS_26BlockGemmPipelineSchedulerE0ELNS_24BlockGemmPipelineVersionE2EddLb0ELb0ELb0ELi0ELb0EEELb1ELNS_25InMemoryDataOperationEnumE0ELi2ELNS_10TailNumberE10EEEvNT_8ArgumentE,comdat
.Lfunc_end4:
	.size	_ZN2ck27kernel_gemm_xdl_cshuffle_v3INS_28GridwiseGemm_xdl_cshuffle_v3INS_13tensor_layout4gemm8RowMajorENS3_11ColumnMajorES4_dddddNS_16tensor_operation12element_wise11PassThroughES8_S8_LNS6_6device18GemmSpecializationE0ELi128ELi64ELi64ELi64ELi4ELi4ELi16ELi16ELi2ELi2ENS_8SequenceIJLi4ELi32ELi1EEEENSB_IJLi1ELi0ELi2EEEESD_Li2ELi2ELi2ELb0ELi0ESC_SD_SD_Li2ELi2ELi2ELb0ELi0ELi1ELi2ENSB_IJLi1ELi32ELi1ELi4EEEELi2ELNS_26BlockGemmPipelineSchedulerE0ELNS_24BlockGemmPipelineVersionE2EddLb0ELb0ELb0ELi0ELb0EEELb1ELNS_25InMemoryDataOperationEnumE0ELi2ELNS_10TailNumberE10EEEvNT_8ArgumentE, .Lfunc_end4-_ZN2ck27kernel_gemm_xdl_cshuffle_v3INS_28GridwiseGemm_xdl_cshuffle_v3INS_13tensor_layout4gemm8RowMajorENS3_11ColumnMajorES4_dddddNS_16tensor_operation12element_wise11PassThroughES8_S8_LNS6_6device18GemmSpecializationE0ELi128ELi64ELi64ELi64ELi4ELi4ELi16ELi16ELi2ELi2ENS_8SequenceIJLi4ELi32ELi1EEEENSB_IJLi1ELi0ELi2EEEESD_Li2ELi2ELi2ELb0ELi0ESC_SD_SD_Li2ELi2ELi2ELb0ELi0ELi1ELi2ENSB_IJLi1ELi32ELi1ELi4EEEELi2ELNS_26BlockGemmPipelineSchedulerE0ELNS_24BlockGemmPipelineVersionE2EddLb0ELb0ELb0ELi0ELb0EEELb1ELNS_25InMemoryDataOperationEnumE0ELi2ELNS_10TailNumberE10EEEvNT_8ArgumentE
                                        ; -- End function
	.set _ZN2ck27kernel_gemm_xdl_cshuffle_v3INS_28GridwiseGemm_xdl_cshuffle_v3INS_13tensor_layout4gemm8RowMajorENS3_11ColumnMajorES4_dddddNS_16tensor_operation12element_wise11PassThroughES8_S8_LNS6_6device18GemmSpecializationE0ELi128ELi64ELi64ELi64ELi4ELi4ELi16ELi16ELi2ELi2ENS_8SequenceIJLi4ELi32ELi1EEEENSB_IJLi1ELi0ELi2EEEESD_Li2ELi2ELi2ELb0ELi0ESC_SD_SD_Li2ELi2ELi2ELb0ELi0ELi1ELi2ENSB_IJLi1ELi32ELi1ELi4EEEELi2ELNS_26BlockGemmPipelineSchedulerE0ELNS_24BlockGemmPipelineVersionE2EddLb0ELb0ELb0ELi0ELb0EEELb1ELNS_25InMemoryDataOperationEnumE0ELi2ELNS_10TailNumberE10EEEvNT_8ArgumentE.num_vgpr, 0
	.set _ZN2ck27kernel_gemm_xdl_cshuffle_v3INS_28GridwiseGemm_xdl_cshuffle_v3INS_13tensor_layout4gemm8RowMajorENS3_11ColumnMajorES4_dddddNS_16tensor_operation12element_wise11PassThroughES8_S8_LNS6_6device18GemmSpecializationE0ELi128ELi64ELi64ELi64ELi4ELi4ELi16ELi16ELi2ELi2ENS_8SequenceIJLi4ELi32ELi1EEEENSB_IJLi1ELi0ELi2EEEESD_Li2ELi2ELi2ELb0ELi0ESC_SD_SD_Li2ELi2ELi2ELb0ELi0ELi1ELi2ENSB_IJLi1ELi32ELi1ELi4EEEELi2ELNS_26BlockGemmPipelineSchedulerE0ELNS_24BlockGemmPipelineVersionE2EddLb0ELb0ELb0ELi0ELb0EEELb1ELNS_25InMemoryDataOperationEnumE0ELi2ELNS_10TailNumberE10EEEvNT_8ArgumentE.num_agpr, 0
	.set _ZN2ck27kernel_gemm_xdl_cshuffle_v3INS_28GridwiseGemm_xdl_cshuffle_v3INS_13tensor_layout4gemm8RowMajorENS3_11ColumnMajorES4_dddddNS_16tensor_operation12element_wise11PassThroughES8_S8_LNS6_6device18GemmSpecializationE0ELi128ELi64ELi64ELi64ELi4ELi4ELi16ELi16ELi2ELi2ENS_8SequenceIJLi4ELi32ELi1EEEENSB_IJLi1ELi0ELi2EEEESD_Li2ELi2ELi2ELb0ELi0ESC_SD_SD_Li2ELi2ELi2ELb0ELi0ELi1ELi2ENSB_IJLi1ELi32ELi1ELi4EEEELi2ELNS_26BlockGemmPipelineSchedulerE0ELNS_24BlockGemmPipelineVersionE2EddLb0ELb0ELb0ELi0ELb0EEELb1ELNS_25InMemoryDataOperationEnumE0ELi2ELNS_10TailNumberE10EEEvNT_8ArgumentE.numbered_sgpr, 0
	.set _ZN2ck27kernel_gemm_xdl_cshuffle_v3INS_28GridwiseGemm_xdl_cshuffle_v3INS_13tensor_layout4gemm8RowMajorENS3_11ColumnMajorES4_dddddNS_16tensor_operation12element_wise11PassThroughES8_S8_LNS6_6device18GemmSpecializationE0ELi128ELi64ELi64ELi64ELi4ELi4ELi16ELi16ELi2ELi2ENS_8SequenceIJLi4ELi32ELi1EEEENSB_IJLi1ELi0ELi2EEEESD_Li2ELi2ELi2ELb0ELi0ESC_SD_SD_Li2ELi2ELi2ELb0ELi0ELi1ELi2ENSB_IJLi1ELi32ELi1ELi4EEEELi2ELNS_26BlockGemmPipelineSchedulerE0ELNS_24BlockGemmPipelineVersionE2EddLb0ELb0ELb0ELi0ELb0EEELb1ELNS_25InMemoryDataOperationEnumE0ELi2ELNS_10TailNumberE10EEEvNT_8ArgumentE.num_named_barrier, 0
	.set _ZN2ck27kernel_gemm_xdl_cshuffle_v3INS_28GridwiseGemm_xdl_cshuffle_v3INS_13tensor_layout4gemm8RowMajorENS3_11ColumnMajorES4_dddddNS_16tensor_operation12element_wise11PassThroughES8_S8_LNS6_6device18GemmSpecializationE0ELi128ELi64ELi64ELi64ELi4ELi4ELi16ELi16ELi2ELi2ENS_8SequenceIJLi4ELi32ELi1EEEENSB_IJLi1ELi0ELi2EEEESD_Li2ELi2ELi2ELb0ELi0ESC_SD_SD_Li2ELi2ELi2ELb0ELi0ELi1ELi2ENSB_IJLi1ELi32ELi1ELi4EEEELi2ELNS_26BlockGemmPipelineSchedulerE0ELNS_24BlockGemmPipelineVersionE2EddLb0ELb0ELb0ELi0ELb0EEELb1ELNS_25InMemoryDataOperationEnumE0ELi2ELNS_10TailNumberE10EEEvNT_8ArgumentE.private_seg_size, 0
	.set _ZN2ck27kernel_gemm_xdl_cshuffle_v3INS_28GridwiseGemm_xdl_cshuffle_v3INS_13tensor_layout4gemm8RowMajorENS3_11ColumnMajorES4_dddddNS_16tensor_operation12element_wise11PassThroughES8_S8_LNS6_6device18GemmSpecializationE0ELi128ELi64ELi64ELi64ELi4ELi4ELi16ELi16ELi2ELi2ENS_8SequenceIJLi4ELi32ELi1EEEENSB_IJLi1ELi0ELi2EEEESD_Li2ELi2ELi2ELb0ELi0ESC_SD_SD_Li2ELi2ELi2ELb0ELi0ELi1ELi2ENSB_IJLi1ELi32ELi1ELi4EEEELi2ELNS_26BlockGemmPipelineSchedulerE0ELNS_24BlockGemmPipelineVersionE2EddLb0ELb0ELb0ELi0ELb0EEELb1ELNS_25InMemoryDataOperationEnumE0ELi2ELNS_10TailNumberE10EEEvNT_8ArgumentE.uses_vcc, 0
	.set _ZN2ck27kernel_gemm_xdl_cshuffle_v3INS_28GridwiseGemm_xdl_cshuffle_v3INS_13tensor_layout4gemm8RowMajorENS3_11ColumnMajorES4_dddddNS_16tensor_operation12element_wise11PassThroughES8_S8_LNS6_6device18GemmSpecializationE0ELi128ELi64ELi64ELi64ELi4ELi4ELi16ELi16ELi2ELi2ENS_8SequenceIJLi4ELi32ELi1EEEENSB_IJLi1ELi0ELi2EEEESD_Li2ELi2ELi2ELb0ELi0ESC_SD_SD_Li2ELi2ELi2ELb0ELi0ELi1ELi2ENSB_IJLi1ELi32ELi1ELi4EEEELi2ELNS_26BlockGemmPipelineSchedulerE0ELNS_24BlockGemmPipelineVersionE2EddLb0ELb0ELb0ELi0ELb0EEELb1ELNS_25InMemoryDataOperationEnumE0ELi2ELNS_10TailNumberE10EEEvNT_8ArgumentE.uses_flat_scratch, 0
	.set _ZN2ck27kernel_gemm_xdl_cshuffle_v3INS_28GridwiseGemm_xdl_cshuffle_v3INS_13tensor_layout4gemm8RowMajorENS3_11ColumnMajorES4_dddddNS_16tensor_operation12element_wise11PassThroughES8_S8_LNS6_6device18GemmSpecializationE0ELi128ELi64ELi64ELi64ELi4ELi4ELi16ELi16ELi2ELi2ENS_8SequenceIJLi4ELi32ELi1EEEENSB_IJLi1ELi0ELi2EEEESD_Li2ELi2ELi2ELb0ELi0ESC_SD_SD_Li2ELi2ELi2ELb0ELi0ELi1ELi2ENSB_IJLi1ELi32ELi1ELi4EEEELi2ELNS_26BlockGemmPipelineSchedulerE0ELNS_24BlockGemmPipelineVersionE2EddLb0ELb0ELb0ELi0ELb0EEELb1ELNS_25InMemoryDataOperationEnumE0ELi2ELNS_10TailNumberE10EEEvNT_8ArgumentE.has_dyn_sized_stack, 0
	.set _ZN2ck27kernel_gemm_xdl_cshuffle_v3INS_28GridwiseGemm_xdl_cshuffle_v3INS_13tensor_layout4gemm8RowMajorENS3_11ColumnMajorES4_dddddNS_16tensor_operation12element_wise11PassThroughES8_S8_LNS6_6device18GemmSpecializationE0ELi128ELi64ELi64ELi64ELi4ELi4ELi16ELi16ELi2ELi2ENS_8SequenceIJLi4ELi32ELi1EEEENSB_IJLi1ELi0ELi2EEEESD_Li2ELi2ELi2ELb0ELi0ESC_SD_SD_Li2ELi2ELi2ELb0ELi0ELi1ELi2ENSB_IJLi1ELi32ELi1ELi4EEEELi2ELNS_26BlockGemmPipelineSchedulerE0ELNS_24BlockGemmPipelineVersionE2EddLb0ELb0ELb0ELi0ELb0EEELb1ELNS_25InMemoryDataOperationEnumE0ELi2ELNS_10TailNumberE10EEEvNT_8ArgumentE.has_recursion, 0
	.set _ZN2ck27kernel_gemm_xdl_cshuffle_v3INS_28GridwiseGemm_xdl_cshuffle_v3INS_13tensor_layout4gemm8RowMajorENS3_11ColumnMajorES4_dddddNS_16tensor_operation12element_wise11PassThroughES8_S8_LNS6_6device18GemmSpecializationE0ELi128ELi64ELi64ELi64ELi4ELi4ELi16ELi16ELi2ELi2ENS_8SequenceIJLi4ELi32ELi1EEEENSB_IJLi1ELi0ELi2EEEESD_Li2ELi2ELi2ELb0ELi0ESC_SD_SD_Li2ELi2ELi2ELb0ELi0ELi1ELi2ENSB_IJLi1ELi32ELi1ELi4EEEELi2ELNS_26BlockGemmPipelineSchedulerE0ELNS_24BlockGemmPipelineVersionE2EddLb0ELb0ELb0ELi0ELb0EEELb1ELNS_25InMemoryDataOperationEnumE0ELi2ELNS_10TailNumberE10EEEvNT_8ArgumentE.has_indirect_call, 0
	.section	.AMDGPU.csdata,"",@progbits
; Kernel info:
; codeLenInByte = 4
; TotalNumSgprs: 6
; NumVgprs: 0
; NumAgprs: 0
; TotalNumVgprs: 0
; ScratchSize: 0
; MemoryBound: 0
; FloatMode: 240
; IeeeMode: 1
; LDSByteSize: 0 bytes/workgroup (compile time only)
; SGPRBlocks: 0
; VGPRBlocks: 0
; NumSGPRsForWavesPerEU: 6
; NumVGPRsForWavesPerEU: 1
; AccumOffset: 4
; Occupancy: 8
; WaveLimiterHint : 0
; COMPUTE_PGM_RSRC2:SCRATCH_EN: 0
; COMPUTE_PGM_RSRC2:USER_SGPR: 2
; COMPUTE_PGM_RSRC2:TRAP_HANDLER: 0
; COMPUTE_PGM_RSRC2:TGID_X_EN: 1
; COMPUTE_PGM_RSRC2:TGID_Y_EN: 0
; COMPUTE_PGM_RSRC2:TGID_Z_EN: 0
; COMPUTE_PGM_RSRC2:TIDIG_COMP_CNT: 0
; COMPUTE_PGM_RSRC3_GFX90A:ACCUM_OFFSET: 0
; COMPUTE_PGM_RSRC3_GFX90A:TG_SPLIT: 0
	.section	.AMDGPU.gpr_maximums,"",@progbits
	.set amdgpu.max_num_vgpr, 0
	.set amdgpu.max_num_agpr, 0
	.set amdgpu.max_num_sgpr, 0
	.section	.AMDGPU.csdata,"",@progbits
	.type	__hip_cuid_bce4bce2790b3090,@object ; @__hip_cuid_bce4bce2790b3090
	.section	.bss,"aw",@nobits
	.globl	__hip_cuid_bce4bce2790b3090
__hip_cuid_bce4bce2790b3090:
	.byte	0                               ; 0x0
	.size	__hip_cuid_bce4bce2790b3090, 1

	.ident	"AMD clang version 22.0.0git (https://github.com/RadeonOpenCompute/llvm-project roc-7.2.4 26084 f58b06dce1f9c15707c5f808fd002e18c2accf7e)"
	.section	".note.GNU-stack","",@progbits
	.addrsig
	.addrsig_sym __hip_cuid_bce4bce2790b3090
	.amdgpu_metadata
---
amdhsa.kernels:
  - .agpr_count:     0
    .args:           []
    .group_segment_fixed_size: 0
    .kernarg_segment_align: 4
    .kernarg_segment_size: 0
    .language:       OpenCL C
    .language_version:
      - 2
      - 0
    .max_flat_workgroup_size: 1024
    .name:           _ZN2ckL12flush_icacheEv
    .private_segment_fixed_size: 0
    .sgpr_count:     6
    .sgpr_spill_count: 0
    .symbol:         _ZN2ckL12flush_icacheEv.kd
    .uniform_work_group_size: 1
    .uses_dynamic_stack: false
    .vgpr_count:     0
    .vgpr_spill_count: 0
    .wavefront_size: 64
  - .agpr_count:     224
    .args:
      - .offset:         0
        .size:           112
        .value_kind:     by_value
    .group_segment_fixed_size: 65536
    .kernarg_segment_align: 8
    .kernarg_segment_size: 112
    .language:       OpenCL C
    .language_version:
      - 2
      - 0
    .max_flat_workgroup_size: 128
    .name:           _ZN2ck27kernel_gemm_xdl_cshuffle_v3INS_28GridwiseGemm_xdl_cshuffle_v3INS_13tensor_layout4gemm8RowMajorENS3_11ColumnMajorES4_dddddNS_16tensor_operation12element_wise11PassThroughES8_S8_LNS6_6device18GemmSpecializationE0ELi128ELi64ELi64ELi64ELi4ELi4ELi16ELi16ELi2ELi4ENS_8SequenceIJLi4ELi32ELi1EEEENSB_IJLi1ELi0ELi2EEEESD_Li2ELi2ELi2ELb0ELi0ESC_SD_SD_Li2ELi2ELi2ELb0ELi0ELi1ELi2ENSB_IJLi1ELi32ELi1ELi4EEEELi2ELNS_26BlockGemmPipelineSchedulerE0ELNS_24BlockGemmPipelineVersionE2EddLb0ELb0ELb0ELi0ELb0EEELb1ELNS_25InMemoryDataOperationEnumE1ELi2ELNS_10TailNumberE10EEEvNT_8ArgumentE
    .private_segment_fixed_size: 0
    .sgpr_count:     34
    .sgpr_spill_count: 0
    .symbol:         _ZN2ck27kernel_gemm_xdl_cshuffle_v3INS_28GridwiseGemm_xdl_cshuffle_v3INS_13tensor_layout4gemm8RowMajorENS3_11ColumnMajorES4_dddddNS_16tensor_operation12element_wise11PassThroughES8_S8_LNS6_6device18GemmSpecializationE0ELi128ELi64ELi64ELi64ELi4ELi4ELi16ELi16ELi2ELi4ENS_8SequenceIJLi4ELi32ELi1EEEENSB_IJLi1ELi0ELi2EEEESD_Li2ELi2ELi2ELb0ELi0ESC_SD_SD_Li2ELi2ELi2ELb0ELi0ELi1ELi2ENSB_IJLi1ELi32ELi1ELi4EEEELi2ELNS_26BlockGemmPipelineSchedulerE0ELNS_24BlockGemmPipelineVersionE2EddLb0ELb0ELb0ELi0ELb0EEELb1ELNS_25InMemoryDataOperationEnumE1ELi2ELNS_10TailNumberE10EEEvNT_8ArgumentE.kd
    .uniform_work_group_size: 1
    .uses_dynamic_stack: false
    .vgpr_count:     480
    .vgpr_spill_count: 0
    .wavefront_size: 64
  - .agpr_count:     224
    .args:
      - .offset:         0
        .size:           112
        .value_kind:     by_value
    .group_segment_fixed_size: 65536
    .kernarg_segment_align: 8
    .kernarg_segment_size: 112
    .language:       OpenCL C
    .language_version:
      - 2
      - 0
    .max_flat_workgroup_size: 128
    .name:           _ZN2ck27kernel_gemm_xdl_cshuffle_v3INS_28GridwiseGemm_xdl_cshuffle_v3INS_13tensor_layout4gemm8RowMajorENS3_11ColumnMajorES4_dddddNS_16tensor_operation12element_wise11PassThroughES8_S8_LNS6_6device18GemmSpecializationE0ELi128ELi64ELi64ELi64ELi4ELi4ELi16ELi16ELi2ELi4ENS_8SequenceIJLi4ELi32ELi1EEEENSB_IJLi1ELi0ELi2EEEESD_Li2ELi2ELi2ELb0ELi0ESC_SD_SD_Li2ELi2ELi2ELb0ELi0ELi1ELi2ENSB_IJLi1ELi32ELi1ELi4EEEELi2ELNS_26BlockGemmPipelineSchedulerE0ELNS_24BlockGemmPipelineVersionE2EddLb0ELb0ELb0ELi0ELb0EEELb1ELNS_25InMemoryDataOperationEnumE0ELi2ELNS_10TailNumberE10EEEvNT_8ArgumentE
    .private_segment_fixed_size: 0
    .sgpr_count:     35
    .sgpr_spill_count: 0
    .symbol:         _ZN2ck27kernel_gemm_xdl_cshuffle_v3INS_28GridwiseGemm_xdl_cshuffle_v3INS_13tensor_layout4gemm8RowMajorENS3_11ColumnMajorES4_dddddNS_16tensor_operation12element_wise11PassThroughES8_S8_LNS6_6device18GemmSpecializationE0ELi128ELi64ELi64ELi64ELi4ELi4ELi16ELi16ELi2ELi4ENS_8SequenceIJLi4ELi32ELi1EEEENSB_IJLi1ELi0ELi2EEEESD_Li2ELi2ELi2ELb0ELi0ESC_SD_SD_Li2ELi2ELi2ELb0ELi0ELi1ELi2ENSB_IJLi1ELi32ELi1ELi4EEEELi2ELNS_26BlockGemmPipelineSchedulerE0ELNS_24BlockGemmPipelineVersionE2EddLb0ELb0ELb0ELi0ELb0EEELb1ELNS_25InMemoryDataOperationEnumE0ELi2ELNS_10TailNumberE10EEEvNT_8ArgumentE.kd
    .uniform_work_group_size: 1
    .uses_dynamic_stack: false
    .vgpr_count:     480
    .vgpr_spill_count: 0
    .wavefront_size: 64
  - .agpr_count:     0
    .args:
      - .offset:         0
        .size:           112
        .value_kind:     by_value
    .group_segment_fixed_size: 0
    .kernarg_segment_align: 8
    .kernarg_segment_size: 112
    .language:       OpenCL C
    .language_version:
      - 2
      - 0
    .max_flat_workgroup_size: 128
    .name:           _ZN2ck27kernel_gemm_xdl_cshuffle_v3INS_28GridwiseGemm_xdl_cshuffle_v3INS_13tensor_layout4gemm8RowMajorENS3_11ColumnMajorES4_dddddNS_16tensor_operation12element_wise11PassThroughES8_S8_LNS6_6device18GemmSpecializationE0ELi128ELi64ELi64ELi64ELi4ELi4ELi16ELi16ELi2ELi2ENS_8SequenceIJLi4ELi32ELi1EEEENSB_IJLi1ELi0ELi2EEEESD_Li2ELi2ELi2ELb0ELi0ESC_SD_SD_Li2ELi2ELi2ELb0ELi0ELi1ELi2ENSB_IJLi1ELi32ELi1ELi4EEEELi2ELNS_26BlockGemmPipelineSchedulerE0ELNS_24BlockGemmPipelineVersionE2EddLb0ELb0ELb0ELi0ELb0EEELb1ELNS_25InMemoryDataOperationEnumE1ELi2ELNS_10TailNumberE10EEEvNT_8ArgumentE
    .private_segment_fixed_size: 0
    .sgpr_count:     6
    .sgpr_spill_count: 0
    .symbol:         _ZN2ck27kernel_gemm_xdl_cshuffle_v3INS_28GridwiseGemm_xdl_cshuffle_v3INS_13tensor_layout4gemm8RowMajorENS3_11ColumnMajorES4_dddddNS_16tensor_operation12element_wise11PassThroughES8_S8_LNS6_6device18GemmSpecializationE0ELi128ELi64ELi64ELi64ELi4ELi4ELi16ELi16ELi2ELi2ENS_8SequenceIJLi4ELi32ELi1EEEENSB_IJLi1ELi0ELi2EEEESD_Li2ELi2ELi2ELb0ELi0ESC_SD_SD_Li2ELi2ELi2ELb0ELi0ELi1ELi2ENSB_IJLi1ELi32ELi1ELi4EEEELi2ELNS_26BlockGemmPipelineSchedulerE0ELNS_24BlockGemmPipelineVersionE2EddLb0ELb0ELb0ELi0ELb0EEELb1ELNS_25InMemoryDataOperationEnumE1ELi2ELNS_10TailNumberE10EEEvNT_8ArgumentE.kd
    .uniform_work_group_size: 1
    .uses_dynamic_stack: false
    .vgpr_count:     0
    .vgpr_spill_count: 0
    .wavefront_size: 64
  - .agpr_count:     0
    .args:
      - .offset:         0
        .size:           112
        .value_kind:     by_value
    .group_segment_fixed_size: 0
    .kernarg_segment_align: 8
    .kernarg_segment_size: 112
    .language:       OpenCL C
    .language_version:
      - 2
      - 0
    .max_flat_workgroup_size: 128
    .name:           _ZN2ck27kernel_gemm_xdl_cshuffle_v3INS_28GridwiseGemm_xdl_cshuffle_v3INS_13tensor_layout4gemm8RowMajorENS3_11ColumnMajorES4_dddddNS_16tensor_operation12element_wise11PassThroughES8_S8_LNS6_6device18GemmSpecializationE0ELi128ELi64ELi64ELi64ELi4ELi4ELi16ELi16ELi2ELi2ENS_8SequenceIJLi4ELi32ELi1EEEENSB_IJLi1ELi0ELi2EEEESD_Li2ELi2ELi2ELb0ELi0ESC_SD_SD_Li2ELi2ELi2ELb0ELi0ELi1ELi2ENSB_IJLi1ELi32ELi1ELi4EEEELi2ELNS_26BlockGemmPipelineSchedulerE0ELNS_24BlockGemmPipelineVersionE2EddLb0ELb0ELb0ELi0ELb0EEELb1ELNS_25InMemoryDataOperationEnumE0ELi2ELNS_10TailNumberE10EEEvNT_8ArgumentE
    .private_segment_fixed_size: 0
    .sgpr_count:     6
    .sgpr_spill_count: 0
    .symbol:         _ZN2ck27kernel_gemm_xdl_cshuffle_v3INS_28GridwiseGemm_xdl_cshuffle_v3INS_13tensor_layout4gemm8RowMajorENS3_11ColumnMajorES4_dddddNS_16tensor_operation12element_wise11PassThroughES8_S8_LNS6_6device18GemmSpecializationE0ELi128ELi64ELi64ELi64ELi4ELi4ELi16ELi16ELi2ELi2ENS_8SequenceIJLi4ELi32ELi1EEEENSB_IJLi1ELi0ELi2EEEESD_Li2ELi2ELi2ELb0ELi0ESC_SD_SD_Li2ELi2ELi2ELb0ELi0ELi1ELi2ENSB_IJLi1ELi32ELi1ELi4EEEELi2ELNS_26BlockGemmPipelineSchedulerE0ELNS_24BlockGemmPipelineVersionE2EddLb0ELb0ELb0ELi0ELb0EEELb1ELNS_25InMemoryDataOperationEnumE0ELi2ELNS_10TailNumberE10EEEvNT_8ArgumentE.kd
    .uniform_work_group_size: 1
    .uses_dynamic_stack: false
    .vgpr_count:     0
    .vgpr_spill_count: 0
    .wavefront_size: 64
amdhsa.target:   amdgcn-amd-amdhsa--gfx950
amdhsa.version:
  - 1
  - 2
...

	.end_amdgpu_metadata
